;; amdgpu-corpus repo=ROCm/rocFFT kind=compiled arch=gfx950 opt=O3
	.text
	.amdgcn_target "amdgcn-amd-amdhsa--gfx950"
	.amdhsa_code_object_version 6
	.protected	bluestein_single_back_len2160_dim1_half_op_CI_CI ; -- Begin function bluestein_single_back_len2160_dim1_half_op_CI_CI
	.globl	bluestein_single_back_len2160_dim1_half_op_CI_CI
	.p2align	8
	.type	bluestein_single_back_len2160_dim1_half_op_CI_CI,@function
bluestein_single_back_len2160_dim1_half_op_CI_CI: ; @bluestein_single_back_len2160_dim1_half_op_CI_CI
; %bb.0:
	s_load_dwordx4 s[8:11], s[0:1], 0x28
	v_mul_u32_u24_e32 v1, 0x445, v0
	v_mov_b32_e32 v73, 0
	v_add_u32_sdwa v74, s2, v1 dst_sel:DWORD dst_unused:UNUSED_PAD src0_sel:DWORD src1_sel:WORD_1
	v_mov_b32_e32 v75, v73
	s_waitcnt lgkmcnt(0)
	v_cmp_gt_u64_e32 vcc, s[8:9], v[74:75]
	s_and_saveexec_b64 s[2:3], vcc
	s_cbranch_execz .LBB0_15
; %bb.1:
	s_load_dwordx4 s[4:7], s[0:1], 0x18
	s_load_dwordx2 s[12:13], s[0:1], 0x0
	v_mov_b32_e32 v2, s10
	v_mov_b32_e32 v3, s11
	;; [unrolled: 1-line block ×3, first 2 shown]
	s_waitcnt lgkmcnt(0)
	s_load_dwordx4 s[8:11], s[4:5], 0x0
	v_mul_lo_u16_sdwa v1, v1, v4 dst_sel:DWORD dst_unused:UNUSED_PAD src0_sel:WORD_1 src1_sel:DWORD
	v_sub_u16_e32 v72, v0, v1
	v_lshlrev_b32_e32 v68, 2, v72
	global_load_dword v145, v68, s[12:13]
	s_waitcnt lgkmcnt(0)
	v_mad_u64_u32 v[0:1], s[2:3], s10, v74, 0
	v_mov_b32_e32 v4, v1
	v_mad_u64_u32 v[4:5], s[2:3], s11, v74, v[4:5]
	v_mov_b32_e32 v1, v4
	v_mad_u64_u32 v[4:5], s[2:3], s8, v72, 0
	v_mov_b32_e32 v6, v5
	v_mad_u64_u32 v[6:7], s[2:3], s9, v72, v[6:7]
	s_mul_i32 s2, s9, 0xd8
	s_mul_hi_u32 s3, s8, 0xd8
	v_mov_b32_e32 v5, v6
	v_lshl_add_u64 v[0:1], v[0:1], 2, v[2:3]
	s_add_i32 s3, s3, s2
	s_mul_i32 s2, s8, 0xd8
	v_lshl_add_u64 v[2:3], v[4:5], 2, v[0:1]
	s_lshl_b64 s[14:15], s[2:3], 2
	global_load_dword v10, v[2:3], off
	v_lshl_add_u64 v[2:3], v[2:3], 0, s[14:15]
	global_load_dword v11, v[2:3], off
	global_load_dword v144, v68, s[12:13] offset:864
	v_lshl_add_u64 v[2:3], v[2:3], 0, s[14:15]
	global_load_dword v12, v[2:3], off
	global_load_dword v143, v68, s[12:13] offset:1728
	v_lshl_add_u64 v[2:3], v[2:3], 0, s[14:15]
	global_load_dword v13, v[2:3], off
	global_load_dword v141, v68, s[12:13] offset:2592
	v_lshl_add_u64 v[2:3], v[2:3], 0, s[14:15]
	s_load_dwordx4 s[4:7], s[6:7], 0x0
	global_load_dword v15, v[2:3], off
	global_load_dword v140, v68, s[12:13] offset:3456
	v_or_b32_e32 v135, 0x6c0, v72
	v_mov_b32_e32 v69, v73
	v_lshlrev_b32_e32 v104, 2, v135
	v_lshl_add_u64 v[4:5], v[2:3], 0, s[14:15]
	s_movk_i32 s2, 0x1000
	v_lshl_add_u64 v[70:71], s[12:13], 0, v[68:69]
	global_load_dword v136, v104, s[12:13]
	global_load_dword v134, v68, s[12:13] offset:240
	global_load_dword v133, v68, s[12:13] offset:1104
	;; [unrolled: 1-line block ×4, first 2 shown]
	global_load_dword v16, v[4:5], off
	global_load_dword v124, v68, s[12:13] offset:480
	v_add_co_u32_e32 v2, vcc, s2, v70
	v_lshl_add_u64 v[4:5], v[4:5], 0, s[14:15]
	s_nop 0
	v_addc_co_u32_e32 v3, vcc, 0, v71, vcc
	global_load_dword v142, v[2:3], off offset:224
	global_load_dword v139, v[2:3], off offset:1088
	;; [unrolled: 1-line block ×4, first 2 shown]
	global_load_dword v17, v[4:5], off
	v_mad_u64_u32 v[6:7], s[2:3], s8, v135, 0
	v_mov_b32_e32 v8, v7
	v_mad_u64_u32 v[8:9], s[2:3], s9, v135, v[8:9]
	v_mov_b32_e32 v7, v8
	v_lshl_add_u64 v[4:5], v[4:5], 0, s[14:15]
	v_lshl_add_u64 v[6:7], v[6:7], 2, v[0:1]
	global_load_dword v8, v[4:5], off
	global_load_dword v9, v[6:7], off
	v_mov_b32_e32 v14, 0x6c0
	s_mul_i32 s18, s9, 0x6c0
	v_mad_u64_u32 v[4:5], s[2:3], s8, v14, v[4:5]
	v_add_u32_e32 v5, s18, v5
	global_load_dword v6, v[4:5], off
	s_mul_hi_u32 s3, s8, 0xfffff8a4
	s_mul_i32 s2, s9, 0xfffff8a4
	s_sub_i32 s3, s3, s8
	s_add_i32 s17, s3, s2
	s_mul_i32 s16, s8, 0xfffff8a4
	s_lshl_b64 s[2:3], s[16:17], 2
	v_lshl_add_u64 v[4:5], v[4:5], 0, s[2:3]
	v_or_b32_e32 v123, 0x300, v72
	s_load_dwordx2 s[10:11], s[0:1], 0x38
	s_waitcnt vmcnt(23)
	v_lshrrev_b32_e32 v7, 16, v10
	v_mul_f16_sdwa v18, v145, v10 dst_sel:DWORD dst_unused:UNUSED_PAD src0_sel:WORD_1 src1_sel:DWORD
	v_mul_f16_sdwa v19, v145, v7 dst_sel:DWORD dst_unused:UNUSED_PAD src0_sel:WORD_1 src1_sel:DWORD
	v_fma_f16 v7, v145, v7, -v18
	s_waitcnt vmcnt(22)
	v_lshrrev_b32_e32 v18, 16, v11
	s_waitcnt vmcnt(21)
	v_mul_f16_sdwa v20, v144, v11 dst_sel:DWORD dst_unused:UNUSED_PAD src0_sel:WORD_1 src1_sel:DWORD
	v_fma_f16 v10, v145, v10, v19
	v_mul_f16_sdwa v19, v144, v18 dst_sel:DWORD dst_unused:UNUSED_PAD src0_sel:WORD_1 src1_sel:DWORD
	v_fma_f16 v18, v144, v18, -v20
	s_waitcnt vmcnt(20)
	v_lshrrev_b32_e32 v20, 16, v12
	s_waitcnt vmcnt(19)
	v_mul_f16_sdwa v21, v143, v12 dst_sel:DWORD dst_unused:UNUSED_PAD src0_sel:WORD_1 src1_sel:DWORD
	v_pack_b32_f16 v7, v10, v7
	v_fma_f16 v10, v144, v11, v19
	v_mul_f16_sdwa v11, v143, v20 dst_sel:DWORD dst_unused:UNUSED_PAD src0_sel:WORD_1 src1_sel:DWORD
	v_fma_f16 v19, v143, v20, -v21
	v_pack_b32_f16 v10, v10, v18
	v_fma_f16 v11, v143, v12, v11
	ds_write_b32 v68, v10 offset:864
	v_pack_b32_f16 v10, v11, v19
	global_load_dword v11, v[4:5], off
	ds_write_b32 v68, v10 offset:1728
	s_waitcnt vmcnt(19)
	v_lshrrev_b32_e32 v10, 16, v13
	v_lshl_add_u64 v[4:5], v[4:5], 0, s[14:15]
	s_waitcnt vmcnt(18)
	v_mul_f16_sdwa v18, v141, v10 dst_sel:DWORD dst_unused:UNUSED_PAD src0_sel:WORD_1 src1_sel:DWORD
	global_load_dword v12, v[4:5], off
	global_load_dword v132, v68, s[12:13] offset:2832
	global_load_dword v130, v68, s[12:13] offset:3696
	global_load_dword v119, v68, s[12:13] offset:3936
	global_load_dword v120, v68, s[12:13] offset:3072
	global_load_dword v122, v68, s[12:13] offset:2208
	v_fma_f16 v18, v141, v13, v18
	v_mul_f16_sdwa v13, v141, v13 dst_sel:DWORD dst_unused:UNUSED_PAD src0_sel:WORD_1 src1_sel:DWORD
	v_lshl_add_u64 v[4:5], v[4:5], 0, s[14:15]
	v_fma_f16 v10, v141, v10, -v13
	global_load_dword v13, v[4:5], off
	v_lshl_add_u64 v[4:5], v[4:5], 0, s[14:15]
	v_pack_b32_f16 v10, v18, v10
	global_load_dword v19, v[4:5], off
	ds_write_b32 v68, v10 offset:2592
	s_waitcnt vmcnt(25)
	v_lshrrev_b32_e32 v10, 16, v15
	s_waitcnt vmcnt(24)
	v_mul_f16_sdwa v18, v140, v10 dst_sel:DWORD dst_unused:UNUSED_PAD src0_sel:WORD_1 src1_sel:DWORD
	v_fma_f16 v18, v140, v15, v18
	v_mul_f16_sdwa v15, v140, v15 dst_sel:DWORD dst_unused:UNUSED_PAD src0_sel:WORD_1 src1_sel:DWORD
	v_fma_f16 v10, v140, v10, -v15
	v_pack_b32_f16 v10, v18, v10
	ds_write_b32 v68, v10 offset:3456
	s_waitcnt vmcnt(18)
	v_lshrrev_b32_e32 v10, 16, v16
	s_waitcnt vmcnt(16)
	v_mul_f16_sdwa v18, v142, v10 dst_sel:DWORD dst_unused:UNUSED_PAD src0_sel:WORD_1 src1_sel:DWORD
	v_fma_f16 v18, v142, v16, v18
	v_mul_f16_sdwa v16, v142, v16 dst_sel:DWORD dst_unused:UNUSED_PAD src0_sel:WORD_1 src1_sel:DWORD
	v_fma_f16 v10, v142, v10, -v16
	v_lshl_add_u64 v[4:5], v[4:5], 0, s[14:15]
	v_pack_b32_f16 v10, v18, v10
	global_load_dword v15, v[4:5], off
	global_load_dword v129, v[2:3], off offset:464
	global_load_dword v128, v[2:3], off offset:1328
	global_load_dword v126, v[2:3], off offset:2192
	global_load_dword v116, v[2:3], off offset:1568
	global_load_dword v118, v[2:3], off offset:704
	ds_write_b32 v68, v10 offset:4320
	s_waitcnt vmcnt(18)
	v_lshrrev_b32_e32 v10, 16, v17
	v_mul_f16_sdwa v16, v139, v10 dst_sel:DWORD dst_unused:UNUSED_PAD src0_sel:WORD_1 src1_sel:DWORD
	v_fma_f16 v16, v139, v17, v16
	v_mul_f16_sdwa v17, v139, v17 dst_sel:DWORD dst_unused:UNUSED_PAD src0_sel:WORD_1 src1_sel:DWORD
	v_fma_f16 v10, v139, v10, -v17
	v_pack_b32_f16 v10, v16, v10
	ds_write_b32 v68, v10 offset:5184
	s_waitcnt vmcnt(17)
	v_lshrrev_b32_e32 v10, 16, v8
	v_lshl_add_u64 v[4:5], v[4:5], 0, s[14:15]
	v_mul_f16_sdwa v16, v138, v10 dst_sel:DWORD dst_unused:UNUSED_PAD src0_sel:WORD_1 src1_sel:DWORD
	global_load_dword v17, v[4:5], off
	v_fma_f16 v16, v138, v8, v16
	v_mul_f16_sdwa v8, v138, v8 dst_sel:DWORD dst_unused:UNUSED_PAD src0_sel:WORD_1 src1_sel:DWORD
	v_fma_f16 v8, v138, v10, -v8
	v_lshl_add_u64 v[4:5], v[4:5], 0, s[14:15]
	v_pack_b32_f16 v8, v16, v8
	global_load_dword v16, v[4:5], off
	ds_write_b32 v68, v8 offset:6048
	s_waitcnt vmcnt(18)
	v_lshrrev_b32_e32 v8, 16, v9
	v_mul_f16_sdwa v10, v136, v8 dst_sel:DWORD dst_unused:UNUSED_PAD src0_sel:WORD_1 src1_sel:DWORD
	v_fma_f16 v10, v136, v9, v10
	v_mul_f16_sdwa v9, v136, v9 dst_sel:DWORD dst_unused:UNUSED_PAD src0_sel:WORD_1 src1_sel:DWORD
	v_fma_f16 v8, v136, v8, -v9
	v_pack_b32_f16 v8, v10, v8
	ds_write_b32 v68, v8 offset:6912
	v_lshl_add_u64 v[4:5], v[4:5], 0, s[14:15]
	global_load_dword v10, v[4:5], off
	global_load_dword v125, v[2:3], off offset:3920
	global_load_dword v69, v[2:3], off offset:3296
	v_lshl_add_u64 v[4:5], v[4:5], 0, s[14:15]
	global_load_dword v18, v[4:5], off
	global_load_dword v127, v[2:3], off offset:3056
	s_waitcnt vmcnt(22)
	v_lshrrev_b32_e32 v8, 16, v6
	v_mul_f16_sdwa v9, v137, v8 dst_sel:DWORD dst_unused:UNUSED_PAD src0_sel:WORD_1 src1_sel:DWORD
	v_fma_f16 v9, v137, v6, v9
	v_mul_f16_sdwa v6, v137, v6 dst_sel:DWORD dst_unused:UNUSED_PAD src0_sel:WORD_1 src1_sel:DWORD
	v_fma_f16 v6, v137, v8, -v6
	v_pack_b32_f16 v6, v9, v6
	ds_write_b32 v68, v6 offset:7776
	v_lshl_add_u64 v[4:5], v[4:5], 0, s[14:15]
	s_waitcnt vmcnt(21)
	v_lshrrev_b32_e32 v6, 16, v11
	v_mul_f16_sdwa v8, v134, v6 dst_sel:DWORD dst_unused:UNUSED_PAD src0_sel:WORD_1 src1_sel:DWORD
	v_mul_f16_sdwa v9, v134, v11 dst_sel:DWORD dst_unused:UNUSED_PAD src0_sel:WORD_1 src1_sel:DWORD
	v_fma_f16 v8, v134, v11, v8
	v_fma_f16 v6, v134, v6, -v9
	v_pack_b32_f16 v6, v8, v6
	global_load_dword v11, v[4:5], off
	ds_write2_b32 v68, v7, v6 offset1:60
	s_waitcnt vmcnt(21)
	v_lshrrev_b32_e32 v6, 16, v12
	v_mul_f16_sdwa v7, v133, v6 dst_sel:DWORD dst_unused:UNUSED_PAD src0_sel:WORD_1 src1_sel:DWORD
	v_mul_f16_sdwa v8, v133, v12 dst_sel:DWORD dst_unused:UNUSED_PAD src0_sel:WORD_1 src1_sel:DWORD
	v_lshl_add_u64 v[4:5], v[4:5], 0, s[2:3]
	v_fma_f16 v7, v133, v12, v7
	v_fma_f16 v6, v133, v6, -v8
	global_load_dword v20, v[4:5], off
	v_pack_b32_f16 v12, v7, v6
	s_waitcnt vmcnt(16)
	v_lshrrev_b32_e32 v6, 16, v13
	v_mul_f16_sdwa v7, v131, v6 dst_sel:DWORD dst_unused:UNUSED_PAD src0_sel:WORD_1 src1_sel:DWORD
	v_mul_f16_sdwa v8, v131, v13 dst_sel:DWORD dst_unused:UNUSED_PAD src0_sel:WORD_1 src1_sel:DWORD
	v_fma_f16 v7, v131, v13, v7
	v_fma_f16 v6, v131, v6, -v8
	v_lshl_add_u64 v[4:5], v[4:5], 0, s[14:15]
	v_pack_b32_f16 v13, v7, v6
	s_waitcnt vmcnt(15)
	v_lshrrev_b32_e32 v6, 16, v19
	global_load_dword v21, v[4:5], off
	v_mul_f16_sdwa v7, v132, v6 dst_sel:DWORD dst_unused:UNUSED_PAD src0_sel:WORD_1 src1_sel:DWORD
	v_mul_f16_sdwa v8, v132, v19 dst_sel:DWORD dst_unused:UNUSED_PAD src0_sel:WORD_1 src1_sel:DWORD
	v_fma_f16 v7, v132, v19, v7
	v_fma_f16 v6, v132, v6, -v8
	v_pack_b32_f16 v19, v7, v6
	v_lshl_add_u64 v[4:5], v[4:5], 0, s[14:15]
	v_mad_u64_u32 v[6:7], s[2:3], s8, v123, 0
	global_load_dword v23, v[4:5], off
	v_mov_b32_e32 v8, v7
	v_mad_u64_u32 v[8:9], s[2:3], s9, v123, v[8:9]
	v_mov_b32_e32 v7, v8
	v_lshl_add_u64 v[0:1], v[6:7], 2, v[0:1]
	s_waitcnt vmcnt(16)
	v_lshrrev_b32_e32 v22, 16, v15
	global_load_dword v6, v[0:1], off
	v_mul_f16_sdwa v0, v130, v22 dst_sel:DWORD dst_unused:UNUSED_PAD src0_sel:WORD_1 src1_sel:DWORD
	v_fma_f16 v7, v130, v15, v0
	v_mul_f16_sdwa v0, v130, v15 dst_sel:DWORD dst_unused:UNUSED_PAD src0_sel:WORD_1 src1_sel:DWORD
	v_fma_f16 v8, v130, v22, -v0
	v_mad_u64_u32 v[0:1], s[2:3], s8, v14, v[4:5]
	v_add_u32_e32 v1, s18, v1
	global_load_dword v9, v[0:1], off
	s_waitcnt vmcnt(12)
	v_lshrrev_b32_e32 v4, 16, v17
	v_lshl_add_u64 v[0:1], v[0:1], 0, s[14:15]
	v_pack_b32_f16 v7, v7, v8
	v_mul_f16_sdwa v5, v129, v4 dst_sel:DWORD dst_unused:UNUSED_PAD src0_sel:WORD_1 src1_sel:DWORD
	v_mul_f16_sdwa v8, v129, v17 dst_sel:DWORD dst_unused:UNUSED_PAD src0_sel:WORD_1 src1_sel:DWORD
	global_load_dword v14, v[0:1], off
	v_fma_f16 v5, v129, v17, v5
	v_fma_f16 v4, v129, v4, -v8
	v_pack_b32_f16 v15, v5, v4
	s_waitcnt vmcnt(12)
	v_lshrrev_b32_e32 v4, 16, v16
	v_mul_f16_sdwa v5, v128, v4 dst_sel:DWORD dst_unused:UNUSED_PAD src0_sel:WORD_1 src1_sel:DWORD
	v_lshl_add_u64 v[0:1], v[0:1], 0, s[14:15]
	v_fma_f16 v5, v128, v16, v5
	v_mul_f16_sdwa v8, v128, v16 dst_sel:DWORD dst_unused:UNUSED_PAD src0_sel:WORD_1 src1_sel:DWORD
	global_load_dword v16, v[0:1], off
	v_fma_f16 v4, v128, v4, -v8
	v_pack_b32_f16 v17, v5, v4
	s_waitcnt vmcnt(12)
	v_lshrrev_b32_e32 v4, 16, v10
	v_mul_f16_sdwa v5, v126, v4 dst_sel:DWORD dst_unused:UNUSED_PAD src0_sel:WORD_1 src1_sel:DWORD
	v_lshl_add_u64 v[0:1], v[0:1], 0, s[14:15]
	v_fma_f16 v5, v126, v10, v5
	v_mul_f16_sdwa v8, v126, v10 dst_sel:DWORD dst_unused:UNUSED_PAD src0_sel:WORD_1 src1_sel:DWORD
	global_load_dword v10, v[0:1], off
	global_load_dword v117, v[2:3], off offset:2432
	v_fma_f16 v4, v126, v4, -v8
	v_pack_b32_f16 v22, v5, v4
	s_waitcnt vmcnt(11)
	v_lshrrev_b32_e32 v4, 16, v18
	s_waitcnt vmcnt(10)
	v_mul_f16_sdwa v5, v127, v4 dst_sel:DWORD dst_unused:UNUSED_PAD src0_sel:WORD_1 src1_sel:DWORD
	v_lshl_add_u64 v[0:1], v[0:1], 0, s[14:15]
	v_fma_f16 v8, v127, v18, v5
	v_mul_f16_sdwa v5, v127, v18 dst_sel:DWORD dst_unused:UNUSED_PAD src0_sel:WORD_1 src1_sel:DWORD
	global_load_dword v18, v[0:1], off
	v_fma_f16 v24, v127, v4, -v5
	v_lshl_add_u64 v[0:1], v[0:1], 0, s[14:15]
	v_add_co_u32_e32 v4, vcc, 0x2000, v70
	global_load_dword v25, v[0:1], off
	s_nop 0
	v_addc_co_u32_e32 v5, vcc, 0, v71, vcc
	global_load_dword v75, v[4:5], off offset:64
	s_waitcnt vmcnt(12)
	v_lshrrev_b32_e32 v4, 16, v11
	v_pack_b32_f16 v24, v8, v24
	v_mul_f16_sdwa v5, v125, v4 dst_sel:DWORD dst_unused:UNUSED_PAD src0_sel:WORD_1 src1_sel:DWORD
	v_mul_f16_sdwa v8, v125, v11 dst_sel:DWORD dst_unused:UNUSED_PAD src0_sel:WORD_1 src1_sel:DWORD
	v_fma_f16 v5, v125, v11, v5
	v_fma_f16 v4, v125, v4, -v8
	v_pack_b32_f16 v11, v5, v4
	s_waitcnt vmcnt(11)
	v_lshrrev_b32_e32 v4, 16, v20
	v_mul_f16_sdwa v5, v124, v4 dst_sel:DWORD dst_unused:UNUSED_PAD src0_sel:WORD_1 src1_sel:DWORD
	v_mul_f16_sdwa v8, v124, v20 dst_sel:DWORD dst_unused:UNUSED_PAD src0_sel:WORD_1 src1_sel:DWORD
	v_fma_f16 v5, v124, v20, v5
	v_fma_f16 v4, v124, v4, -v8
	v_pack_b32_f16 v4, v5, v4
	ds_write_b32 v68, v4 offset:480
	v_add_u32_e32 v20, 0x1e00, v68
	v_cmp_gt_u16_e64 s[2:3], 36, v72
	s_waitcnt vmcnt(10)
	v_lshrrev_b32_e32 v4, 16, v21
	v_mul_f16_sdwa v5, v121, v4 dst_sel:DWORD dst_unused:UNUSED_PAD src0_sel:WORD_1 src1_sel:DWORD
	v_mul_f16_sdwa v8, v121, v21 dst_sel:DWORD dst_unused:UNUSED_PAD src0_sel:WORD_1 src1_sel:DWORD
	v_fma_f16 v5, v121, v21, v5
	v_fma_f16 v4, v121, v4, -v8
	v_pack_b32_f16 v5, v5, v4
	v_add_u32_e32 v4, 0x400, v68
	ds_write2_b32 v4, v12, v5 offset0:20 offset1:80
	s_waitcnt vmcnt(9)
	v_lshrrev_b32_e32 v5, 16, v23
	v_mul_f16_sdwa v8, v122, v5 dst_sel:DWORD dst_unused:UNUSED_PAD src0_sel:WORD_1 src1_sel:DWORD
	v_mul_f16_sdwa v12, v122, v23 dst_sel:DWORD dst_unused:UNUSED_PAD src0_sel:WORD_1 src1_sel:DWORD
	v_fma_f16 v8, v122, v23, v8
	v_fma_f16 v5, v122, v5, -v12
	v_pack_b32_f16 v5, v8, v5
	v_add_u32_e32 v8, 0x600, v68
	ds_write2_b32 v8, v13, v5 offset0:108 offset1:168
	s_waitcnt vmcnt(8)
	v_lshrrev_b32_e32 v5, 16, v6
	v_mul_f16_sdwa v8, v120, v5 dst_sel:DWORD dst_unused:UNUSED_PAD src0_sel:WORD_1 src1_sel:DWORD
	v_fma_f16 v8, v120, v6, v8
	v_mul_f16_sdwa v6, v120, v6 dst_sel:DWORD dst_unused:UNUSED_PAD src0_sel:WORD_1 src1_sel:DWORD
	v_fma_f16 v5, v120, v5, -v6
	v_pack_b32_f16 v6, v8, v5
	v_add_u32_e32 v5, 0xa00, v68
	ds_write2_b32 v5, v19, v6 offset0:68 offset1:128
	s_waitcnt vmcnt(7)
	v_lshrrev_b32_e32 v6, 16, v9
	v_mul_f16_sdwa v8, v119, v6 dst_sel:DWORD dst_unused:UNUSED_PAD src0_sel:WORD_1 src1_sel:DWORD
	v_fma_f16 v8, v119, v9, v8
	v_mul_f16_sdwa v9, v119, v9 dst_sel:DWORD dst_unused:UNUSED_PAD src0_sel:WORD_1 src1_sel:DWORD
	v_fma_f16 v6, v119, v6, -v9
	v_pack_b32_f16 v6, v8, v6
	v_add_u32_e32 v8, 0xc00, v68
	ds_write2_b32 v8, v7, v6 offset0:156 offset1:216
	s_waitcnt vmcnt(6)
	v_lshrrev_b32_e32 v6, 16, v14
	v_mul_f16_sdwa v7, v118, v6 dst_sel:DWORD dst_unused:UNUSED_PAD src0_sel:WORD_1 src1_sel:DWORD
	v_mul_f16_sdwa v9, v118, v14 dst_sel:DWORD dst_unused:UNUSED_PAD src0_sel:WORD_1 src1_sel:DWORD
	v_fma_f16 v7, v118, v14, v7
	v_fma_f16 v6, v118, v6, -v9
	v_pack_b32_f16 v7, v7, v6
	v_add_u32_e32 v6, 0x1000, v68
	ds_write2_b32 v6, v15, v7 offset0:116 offset1:176
	s_waitcnt vmcnt(5)
	v_lshrrev_b32_e32 v7, 16, v16
	v_mul_f16_sdwa v9, v116, v7 dst_sel:DWORD dst_unused:UNUSED_PAD src0_sel:WORD_1 src1_sel:DWORD
	v_mul_f16_sdwa v12, v116, v16 dst_sel:DWORD dst_unused:UNUSED_PAD src0_sel:WORD_1 src1_sel:DWORD
	v_fma_f16 v9, v116, v16, v9
	v_fma_f16 v7, v116, v7, -v12
	v_pack_b32_f16 v7, v9, v7
	v_add_u32_e32 v9, 0x1400, v68
	ds_write2_b32 v9, v17, v7 offset0:76 offset1:136
	s_waitcnt vmcnt(4)
	v_lshrrev_b32_e32 v7, 16, v10
	s_waitcnt vmcnt(3)
	v_mul_f16_sdwa v12, v117, v7 dst_sel:DWORD dst_unused:UNUSED_PAD src0_sel:WORD_1 src1_sel:DWORD
	v_fma_f16 v12, v117, v10, v12
	v_mul_f16_sdwa v10, v117, v10 dst_sel:DWORD dst_unused:UNUSED_PAD src0_sel:WORD_1 src1_sel:DWORD
	v_fma_f16 v7, v117, v7, -v10
	v_pack_b32_f16 v10, v12, v7
	v_add_u32_e32 v7, 0x1800, v68
	ds_write2_b32 v7, v22, v10 offset0:36 offset1:96
	s_waitcnt vmcnt(2)
	v_lshrrev_b32_e32 v10, 16, v18
	v_mul_f16_sdwa v12, v69, v10 dst_sel:DWORD dst_unused:UNUSED_PAD src0_sel:WORD_1 src1_sel:DWORD
	v_mul_f16_sdwa v13, v69, v18 dst_sel:DWORD dst_unused:UNUSED_PAD src0_sel:WORD_1 src1_sel:DWORD
	v_fma_f16 v12, v69, v18, v12
	v_fma_f16 v10, v69, v10, -v13
	v_pack_b32_f16 v10, v12, v10
	v_add_u32_e32 v12, 0x1a00, v68
	ds_write2_b32 v12, v24, v10 offset0:124 offset1:184
	s_waitcnt vmcnt(1)
	v_lshrrev_b32_e32 v10, 16, v25
	s_waitcnt vmcnt(0)
	v_mul_f16_sdwa v12, v75, v10 dst_sel:DWORD dst_unused:UNUSED_PAD src0_sel:WORD_1 src1_sel:DWORD
	v_mul_f16_sdwa v13, v75, v25 dst_sel:DWORD dst_unused:UNUSED_PAD src0_sel:WORD_1 src1_sel:DWORD
	v_fma_f16 v12, v75, v25, v12
	v_fma_f16 v10, v75, v10, -v13
	v_pack_b32_f16 v10, v12, v10
	ds_write2_b32 v20, v11, v10 offset0:84 offset1:144
	s_and_saveexec_b64 s[8:9], s[2:3]
	s_cbranch_execz .LBB0_3
; %bb.2:
	v_lshl_add_u64 v[0:1], s[16:17], 2, v[0:1]
	global_load_dword v10, v[0:1], off
	global_load_dword v11, v[70:71], off offset:720
	v_lshl_add_u64 v[0:1], v[0:1], 0, s[14:15]
	global_load_dword v12, v[0:1], off
	global_load_dword v13, v[70:71], off offset:1584
	;; [unrolled: 3-line block ×9, first 2 shown]
	v_add_co_u32_e32 v2, vcc, 0x2000, v70
	v_lshl_add_u64 v[0:1], v[0:1], 0, s[14:15]
	s_nop 0
	v_addc_co_u32_e32 v3, vcc, 0, v71, vcc
	global_load_dword v29, v[0:1], off
	global_load_dword v30, v[2:3], off offset:304
	v_add_u32_e32 v0, 0x280, v68
	v_add_u32_e32 v1, 0x900, v68
	v_add_u32_e32 v2, 0x1700, v68
	s_waitcnt vmcnt(19)
	v_lshrrev_b32_e32 v3, 16, v10
	s_waitcnt vmcnt(18)
	v_mul_f16_sdwa v31, v11, v10 dst_sel:DWORD dst_unused:UNUSED_PAD src0_sel:WORD_1 src1_sel:DWORD
	v_mul_f16_sdwa v32, v11, v3 dst_sel:DWORD dst_unused:UNUSED_PAD src0_sel:WORD_1 src1_sel:DWORD
	v_fma_f16 v3, v11, v3, -v31
	s_waitcnt vmcnt(17)
	v_lshrrev_b32_e32 v31, 16, v12
	s_waitcnt vmcnt(16)
	v_mul_f16_sdwa v33, v13, v12 dst_sel:DWORD dst_unused:UNUSED_PAD src0_sel:WORD_1 src1_sel:DWORD
	v_fma_f16 v10, v11, v10, v32
	v_mul_f16_sdwa v11, v13, v31 dst_sel:DWORD dst_unused:UNUSED_PAD src0_sel:WORD_1 src1_sel:DWORD
	s_waitcnt vmcnt(15)
	v_lshrrev_b32_e32 v32, 16, v14
	v_fma_f16 v31, v13, v31, -v33
	s_waitcnt vmcnt(14)
	v_mul_f16_sdwa v33, v15, v14 dst_sel:DWORD dst_unused:UNUSED_PAD src0_sel:WORD_1 src1_sel:DWORD
	v_pack_b32_f16 v3, v10, v3
	v_fma_f16 v10, v13, v12, v11
	v_mul_f16_sdwa v11, v15, v32 dst_sel:DWORD dst_unused:UNUSED_PAD src0_sel:WORD_1 src1_sel:DWORD
	s_waitcnt vmcnt(13)
	v_lshrrev_b32_e32 v13, 16, v16
	v_fma_f16 v12, v15, v32, -v33
	s_waitcnt vmcnt(12)
	v_mul_f16_sdwa v32, v17, v16 dst_sel:DWORD dst_unused:UNUSED_PAD src0_sel:WORD_1 src1_sel:DWORD
	v_pack_b32_f16 v10, v10, v31
	v_fma_f16 v11, v15, v14, v11
	v_mul_f16_sdwa v14, v17, v13 dst_sel:DWORD dst_unused:UNUSED_PAD src0_sel:WORD_1 src1_sel:DWORD
	s_waitcnt vmcnt(11)
	v_lshrrev_b32_e32 v15, 16, v18
	v_fma_f16 v13, v17, v13, -v32
	s_waitcnt vmcnt(10)
	v_mul_f16_sdwa v31, v19, v18 dst_sel:DWORD dst_unused:UNUSED_PAD src0_sel:WORD_1 src1_sel:DWORD
	ds_write2_b32 v0, v3, v10 offset0:20 offset1:236
	v_pack_b32_f16 v0, v11, v12
	v_fma_f16 v3, v17, v16, v14
	v_mul_f16_sdwa v10, v19, v15 dst_sel:DWORD dst_unused:UNUSED_PAD src0_sel:WORD_1 src1_sel:DWORD
	s_waitcnt vmcnt(9)
	v_lshrrev_b32_e32 v12, 16, v21
	v_fma_f16 v11, v19, v15, -v31
	s_waitcnt vmcnt(8)
	v_mul_f16_sdwa v14, v22, v21 dst_sel:DWORD dst_unused:UNUSED_PAD src0_sel:WORD_1 src1_sel:DWORD
	v_pack_b32_f16 v3, v3, v13
	v_fma_f16 v10, v19, v18, v10
	v_mul_f16_sdwa v13, v22, v12 dst_sel:DWORD dst_unused:UNUSED_PAD src0_sel:WORD_1 src1_sel:DWORD
	v_fma_f16 v12, v22, v12, -v14
	s_waitcnt vmcnt(7)
	v_lshrrev_b32_e32 v14, 16, v23
	ds_write2_b32 v1, v0, v3 offset0:36 offset1:252
	v_pack_b32_f16 v0, v10, v11
	v_fma_f16 v1, v22, v21, v13
	s_waitcnt vmcnt(5)
	v_lshrrev_b32_e32 v11, 16, v25
	v_mul_f16_sdwa v15, v24, v23 dst_sel:DWORD dst_unused:UNUSED_PAD src0_sel:WORD_1 src1_sel:DWORD
	v_mul_f16_sdwa v3, v24, v14 dst_sel:DWORD dst_unused:UNUSED_PAD src0_sel:WORD_1 src1_sel:DWORD
	s_waitcnt vmcnt(4)
	v_mul_f16_sdwa v13, v26, v25 dst_sel:DWORD dst_unused:UNUSED_PAD src0_sel:WORD_1 src1_sel:DWORD
	v_pack_b32_f16 v1, v1, v12
	v_mul_f16_sdwa v12, v26, v11 dst_sel:DWORD dst_unused:UNUSED_PAD src0_sel:WORD_1 src1_sel:DWORD
	v_fma_f16 v10, v24, v14, -v15
	v_fma_f16 v3, v24, v23, v3
	v_fma_f16 v11, v26, v11, -v13
	ds_write2_b32 v6, v0, v1 offset0:20 offset1:236
	v_fma_f16 v1, v26, v25, v12
	s_waitcnt vmcnt(3)
	v_lshrrev_b32_e32 v13, 16, v27
	v_pack_b32_f16 v0, v3, v10
	v_pack_b32_f16 v1, v1, v11
	s_waitcnt vmcnt(2)
	v_mul_f16_sdwa v3, v28, v13 dst_sel:DWORD dst_unused:UNUSED_PAD src0_sel:WORD_1 src1_sel:DWORD
	ds_write2_b32 v2, v0, v1 offset0:4 offset1:220
	v_mul_f16_sdwa v0, v28, v27 dst_sel:DWORD dst_unused:UNUSED_PAD src0_sel:WORD_1 src1_sel:DWORD
	v_fma_f16 v3, v28, v27, v3
	v_fma_f16 v0, v28, v13, -v0
	s_waitcnt vmcnt(1)
	v_lshrrev_b32_e32 v1, 16, v29
	v_pack_b32_f16 v0, v3, v0
	s_waitcnt vmcnt(0)
	v_mul_f16_sdwa v2, v30, v1 dst_sel:DWORD dst_unused:UNUSED_PAD src0_sel:WORD_1 src1_sel:DWORD
	v_mul_f16_sdwa v3, v30, v29 dst_sel:DWORD dst_unused:UNUSED_PAD src0_sel:WORD_1 src1_sel:DWORD
	v_fma_f16 v2, v30, v29, v2
	v_fma_f16 v1, v30, v1, -v3
	v_pack_b32_f16 v1, v2, v1
	v_add_u32_e32 v2, 0x1d80, v68
	ds_write2_b32 v2, v0, v1 offset0:20 offset1:236
.LBB0_3:
	s_or_b64 exec, exec, s[8:9]
	v_add_u32_e32 v0, 0x800, v68
	s_waitcnt lgkmcnt(0)
	; wave barrier
	s_waitcnt lgkmcnt(0)
	ds_read2_b32 v[38:39], v68 offset1:60
	ds_read2_b32 v[34:35], v68 offset0:120 offset1:216
	ds_read2_b32 v[36:37], v4 offset0:176 offset1:236
	ds_read2_b32 v[32:33], v0 offset0:40 offset1:136
	ds_read2_b32 v[22:23], v8 offset0:96 offset1:156
	v_add_u32_e32 v0, 0xe00, v68
	ds_read2_b32 v[10:11], v0 offset0:88 offset1:184
	ds_read2_b32 v[24:25], v9 offset0:16 offset1:76
	;; [unrolled: 1-line block ×4, first 2 shown]
	v_add_u32_e32 v0, 0x1c00, v68
	ds_read2_b32 v[14:15], v0 offset0:56 offset1:152
	ds_read2_b32 v[30:31], v4 offset0:20 offset1:80
	;; [unrolled: 1-line block ×6, first 2 shown]
	s_load_dwordx2 s[0:1], s[0:1], 0x8
                                        ; implicit-def: $vgpr2
                                        ; implicit-def: $vgpr6
                                        ; implicit-def: $vgpr0
                                        ; implicit-def: $vgpr4
                                        ; implicit-def: $vgpr8
	s_and_saveexec_b64 s[8:9], s[2:3]
	s_cbranch_execz .LBB0_5
; %bb.4:
	v_add_u32_e32 v0, 0x280, v68
	ds_read2_b32 v[2:3], v0 offset0:20 offset1:236
	v_add_u32_e32 v0, 0x900, v68
	ds_read2_b32 v[6:7], v0 offset0:36 offset1:252
	v_add_u32_e32 v0, 0x1000, v68
	v_add_u32_e32 v4, 0x1700, v68
	;; [unrolled: 1-line block ×3, first 2 shown]
	ds_read2_b32 v[0:1], v0 offset0:20 offset1:236
	ds_read2_b32 v[4:5], v4 offset0:4 offset1:220
	;; [unrolled: 1-line block ×3, first 2 shown]
.LBB0_5:
	s_or_b64 exec, exec, s[8:9]
	s_waitcnt lgkmcnt(0)
	v_add_f16_e32 v41, v22, v24
	v_fma_f16 v41, v41, -0.5, v38
	v_sub_f16_sdwa v42, v36, v26 dst_sel:DWORD dst_unused:UNUSED_PAD src0_sel:WORD_1 src1_sel:WORD_1
	s_movk_i32 s9, 0x3b9c
	s_mov_b32 s15, 0xbb9c
	v_fma_f16 v43, v42, s9, v41
	v_sub_f16_sdwa v44, v22, v24 dst_sel:DWORD dst_unused:UNUSED_PAD src0_sel:WORD_1 src1_sel:WORD_1
	s_movk_i32 s8, 0x38b4
	v_sub_f16_e32 v45, v26, v24
	v_sub_f16_e32 v46, v36, v22
	v_fma_f16 v41, v42, s15, v41
	s_mov_b32 s14, 0xb8b4
	v_fma_f16 v43, v44, s8, v43
	v_add_f16_e32 v45, v46, v45
	s_movk_i32 s16, 0x34f2
	v_fma_f16 v41, v44, s14, v41
	v_fma_f16 v43, v45, s16, v43
	;; [unrolled: 1-line block ×3, first 2 shown]
	v_add_f16_e32 v45, v36, v26
	v_fma_f16 v45, v45, -0.5, v38
	v_fma_f16 v46, v44, s15, v45
	v_fma_f16 v44, v44, s9, v45
	v_pk_add_f16 v40, v38, v36
	v_fma_f16 v46, v42, s8, v46
	v_sub_f16_e32 v47, v24, v26
	v_sub_f16_e32 v48, v22, v36
	v_fma_f16 v42, v42, s14, v44
	v_add_f16_sdwa v44, v22, v24 dst_sel:DWORD dst_unused:UNUSED_PAD src0_sel:WORD_1 src1_sel:WORD_1
	v_lshrrev_b32_e32 v38, 16, v38
	v_add_f16_e32 v47, v48, v47
	v_fma_f16 v44, v44, -0.5, v38
	v_sub_f16_e32 v45, v36, v26
	v_fma_f16 v46, v47, s16, v46
	v_fma_f16 v42, v47, s16, v42
	;; [unrolled: 1-line block ×3, first 2 shown]
	v_sub_f16_e32 v48, v22, v24
	v_sub_f16_sdwa v49, v36, v22 dst_sel:DWORD dst_unused:UNUSED_PAD src0_sel:WORD_1 src1_sel:WORD_1
	v_sub_f16_sdwa v50, v26, v24 dst_sel:DWORD dst_unused:UNUSED_PAD src0_sel:WORD_1 src1_sel:WORD_1
	v_fma_f16 v44, v45, s9, v44
	v_fma_f16 v47, v48, s14, v47
	v_add_f16_e32 v49, v49, v50
	v_fma_f16 v44, v48, s8, v44
	v_fma_f16 v47, v49, s16, v47
	v_fma_f16 v44, v49, s16, v44
	v_add_f16_sdwa v49, v36, v26 dst_sel:DWORD dst_unused:UNUSED_PAD src0_sel:WORD_1 src1_sel:WORD_1
	v_fma_f16 v38, v49, -0.5, v38
	v_fma_f16 v49, v48, s9, v38
	v_sub_f16_sdwa v36, v22, v36 dst_sel:DWORD dst_unused:UNUSED_PAD src0_sel:WORD_1 src1_sel:WORD_1
	v_sub_f16_sdwa v50, v24, v26 dst_sel:DWORD dst_unused:UNUSED_PAD src0_sel:WORD_1 src1_sel:WORD_1
	v_fma_f16 v38, v48, s15, v38
	v_fma_f16 v49, v45, s14, v49
	v_add_f16_e32 v36, v36, v50
	v_fma_f16 v38, v45, s8, v38
	v_fma_f16 v49, v36, s16, v49
	;; [unrolled: 1-line block ×3, first 2 shown]
	v_add_f16_e32 v38, v11, v13
	v_fma_f16 v38, v38, -0.5, v35
	v_sub_f16_sdwa v48, v33, v15 dst_sel:DWORD dst_unused:UNUSED_PAD src0_sel:WORD_1 src1_sel:WORD_1
	v_fma_f16 v50, v48, s9, v38
	v_sub_f16_sdwa v51, v11, v13 dst_sel:DWORD dst_unused:UNUSED_PAD src0_sel:WORD_1 src1_sel:WORD_1
	v_sub_f16_e32 v52, v15, v13
	v_sub_f16_e32 v53, v33, v11
	v_fma_f16 v38, v48, s15, v38
	v_fma_f16 v50, v51, s8, v50
	v_add_f16_e32 v52, v53, v52
	v_fma_f16 v38, v51, s14, v38
	v_fma_f16 v50, v52, s16, v50
	;; [unrolled: 1-line block ×3, first 2 shown]
	v_add_f16_e32 v52, v33, v15
	v_fma_f16 v52, v52, -0.5, v35
	v_fma_f16 v53, v51, s15, v52
	v_fma_f16 v51, v51, s9, v52
	v_pk_add_f16 v45, v35, v33
	v_fma_f16 v53, v48, s8, v53
	v_sub_f16_e32 v54, v13, v15
	v_sub_f16_e32 v55, v11, v33
	v_fma_f16 v48, v48, s14, v51
	v_add_f16_sdwa v51, v11, v13 dst_sel:DWORD dst_unused:UNUSED_PAD src0_sel:WORD_1 src1_sel:WORD_1
	v_lshrrev_b32_e32 v35, 16, v35
	v_add_f16_e32 v54, v55, v54
	v_fma_f16 v51, v51, -0.5, v35
	v_sub_f16_e32 v52, v33, v15
	v_fma_f16 v53, v54, s16, v53
	v_fma_f16 v48, v54, s16, v48
	;; [unrolled: 1-line block ×3, first 2 shown]
	v_sub_f16_e32 v55, v11, v13
	v_sub_f16_sdwa v56, v33, v11 dst_sel:DWORD dst_unused:UNUSED_PAD src0_sel:WORD_1 src1_sel:WORD_1
	v_sub_f16_sdwa v57, v15, v13 dst_sel:DWORD dst_unused:UNUSED_PAD src0_sel:WORD_1 src1_sel:WORD_1
	v_fma_f16 v51, v52, s9, v51
	v_fma_f16 v54, v55, s14, v54
	v_add_f16_e32 v56, v56, v57
	v_fma_f16 v51, v55, s8, v51
	v_fma_f16 v54, v56, s16, v54
	;; [unrolled: 1-line block ×3, first 2 shown]
	v_add_f16_sdwa v56, v33, v15 dst_sel:DWORD dst_unused:UNUSED_PAD src0_sel:WORD_1 src1_sel:WORD_1
	v_fma_f16 v35, v56, -0.5, v35
	v_fma_f16 v56, v55, s9, v35
	v_sub_f16_sdwa v33, v11, v33 dst_sel:DWORD dst_unused:UNUSED_PAD src0_sel:WORD_1 src1_sel:WORD_1
	v_sub_f16_sdwa v57, v13, v15 dst_sel:DWORD dst_unused:UNUSED_PAD src0_sel:WORD_1 src1_sel:WORD_1
	v_fma_f16 v35, v55, s15, v35
	v_fma_f16 v56, v52, s14, v56
	v_add_f16_e32 v33, v33, v57
	v_fma_f16 v35, v52, s8, v35
	v_fma_f16 v56, v33, s16, v56
	;; [unrolled: 1-line block ×3, first 2 shown]
	v_mul_f16_e32 v58, 0x34f2, v48
	s_movk_i32 s17, 0x3a79
	v_mul_f16_e32 v35, 0x3a79, v50
	v_fma_f16 v58, v33, s9, -v58
	v_mul_f16_e32 v50, 0xb8b4, v50
	v_mul_f16_e32 v33, 0x34f2, v33
	;; [unrolled: 1-line block ×4, first 2 shown]
	v_fma_f16 v50, v54, s17, v50
	v_fma_f16 v33, v48, s15, -v33
	v_fma_f16 v35, v54, s8, v35
	v_fma_f16 v55, v53, s16, v55
	v_fma_f16 v60, v51, s8, -v60
	v_add_f16_e32 v54, v47, v50
	v_mul_f16_e32 v53, 0xbb9c, v53
	v_add_f16_e32 v48, v36, v33
	v_mul_f16_e32 v51, 0x3a79, v51
	v_sub_f16_e32 v47, v47, v50
	v_sub_f16_e32 v50, v36, v33
	v_add_f16_e32 v33, v23, v25
	v_fma_f16 v53, v56, s16, v53
	v_fma_f16 v38, v38, s14, -v51
	v_fma_f16 v33, v33, -0.5, v39
	v_sub_f16_sdwa v36, v37, v27 dst_sel:DWORD dst_unused:UNUSED_PAD src0_sel:WORD_1 src1_sel:WORD_1
	v_add_f16_e32 v57, v46, v55
	v_add_f16_e32 v59, v42, v58
	;; [unrolled: 1-line block ×5, first 2 shown]
	v_sub_f16_e32 v46, v46, v55
	v_sub_f16_e32 v42, v42, v58
	;; [unrolled: 1-line block ×5, first 2 shown]
	v_fma_f16 v38, v36, s9, v33
	v_sub_f16_sdwa v41, v23, v25 dst_sel:DWORD dst_unused:UNUSED_PAD src0_sel:WORD_1 src1_sel:WORD_1
	v_sub_f16_e32 v53, v27, v25
	v_sub_f16_e32 v58, v37, v23
	v_fma_f16 v33, v36, s15, v33
	v_fma_f16 v38, v41, s8, v38
	v_add_f16_e32 v53, v58, v53
	v_fma_f16 v33, v41, s14, v33
	v_fma_f16 v38, v53, s16, v38
	;; [unrolled: 1-line block ×3, first 2 shown]
	v_add_f16_e32 v53, v37, v27
	v_fma_f16 v53, v53, -0.5, v39
	v_fma_f16 v58, v41, s15, v53
	v_fma_f16 v41, v41, s9, v53
	v_add_f16_e32 v52, v43, v35
	v_sub_f16_e32 v43, v43, v35
	v_pk_add_f16 v35, v39, v37
	v_fma_f16 v58, v36, s8, v58
	v_sub_f16_e32 v60, v25, v27
	v_sub_f16_e32 v62, v23, v37
	v_fma_f16 v36, v36, s14, v41
	v_add_f16_sdwa v41, v23, v25 dst_sel:DWORD dst_unused:UNUSED_PAD src0_sel:WORD_1 src1_sel:WORD_1
	v_lshrrev_b32_e32 v39, 16, v39
	v_add_f16_e32 v60, v62, v60
	v_fma_f16 v41, v41, -0.5, v39
	v_sub_f16_e32 v53, v37, v27
	v_fma_f16 v58, v60, s16, v58
	v_fma_f16 v36, v60, s16, v36
	;; [unrolled: 1-line block ×3, first 2 shown]
	v_sub_f16_e32 v62, v23, v25
	v_sub_f16_sdwa v63, v37, v23 dst_sel:DWORD dst_unused:UNUSED_PAD src0_sel:WORD_1 src1_sel:WORD_1
	v_sub_f16_sdwa v64, v27, v25 dst_sel:DWORD dst_unused:UNUSED_PAD src0_sel:WORD_1 src1_sel:WORD_1
	v_fma_f16 v41, v53, s9, v41
	v_fma_f16 v60, v62, s14, v60
	v_add_f16_e32 v63, v63, v64
	v_fma_f16 v41, v62, s8, v41
	v_fma_f16 v60, v63, s16, v60
	;; [unrolled: 1-line block ×3, first 2 shown]
	v_add_f16_sdwa v63, v37, v27 dst_sel:DWORD dst_unused:UNUSED_PAD src0_sel:WORD_1 src1_sel:WORD_1
	v_fma_f16 v39, v63, -0.5, v39
	v_fma_f16 v63, v62, s9, v39
	v_sub_f16_sdwa v37, v23, v37 dst_sel:DWORD dst_unused:UNUSED_PAD src0_sel:WORD_1 src1_sel:WORD_1
	v_sub_f16_sdwa v64, v25, v27 dst_sel:DWORD dst_unused:UNUSED_PAD src0_sel:WORD_1 src1_sel:WORD_1
	v_fma_f16 v39, v62, s15, v39
	v_fma_f16 v63, v53, s14, v63
	v_add_f16_e32 v37, v37, v64
	v_fma_f16 v39, v53, s8, v39
	v_fma_f16 v63, v37, s16, v63
	;; [unrolled: 1-line block ×3, first 2 shown]
	v_add_f16_e32 v39, v16, v18
	v_fma_f16 v39, v39, -0.5, v30
	v_sub_f16_sdwa v62, v28, v20 dst_sel:DWORD dst_unused:UNUSED_PAD src0_sel:WORD_1 src1_sel:WORD_1
	v_fma_f16 v64, v62, s9, v39
	v_sub_f16_sdwa v65, v16, v18 dst_sel:DWORD dst_unused:UNUSED_PAD src0_sel:WORD_1 src1_sel:WORD_1
	v_sub_f16_e32 v66, v20, v18
	v_sub_f16_e32 v67, v28, v16
	v_fma_f16 v39, v62, s15, v39
	v_fma_f16 v64, v65, s8, v64
	v_add_f16_e32 v66, v67, v66
	v_fma_f16 v39, v65, s14, v39
	v_fma_f16 v64, v66, s16, v64
	;; [unrolled: 1-line block ×3, first 2 shown]
	v_add_f16_e32 v66, v28, v20
	v_fma_f16 v66, v66, -0.5, v30
	v_fma_f16 v67, v65, s15, v66
	v_fma_f16 v65, v65, s9, v66
	v_pk_add_f16 v53, v30, v28
	v_fma_f16 v67, v62, s8, v67
	v_sub_f16_e32 v76, v18, v20
	v_sub_f16_e32 v77, v16, v28
	v_fma_f16 v62, v62, s14, v65
	v_add_f16_sdwa v65, v16, v18 dst_sel:DWORD dst_unused:UNUSED_PAD src0_sel:WORD_1 src1_sel:WORD_1
	v_lshrrev_b32_e32 v30, 16, v30
	v_add_f16_e32 v76, v77, v76
	v_fma_f16 v65, v65, -0.5, v30
	v_sub_f16_e32 v66, v28, v20
	v_fma_f16 v67, v76, s16, v67
	v_fma_f16 v62, v76, s16, v62
	;; [unrolled: 1-line block ×3, first 2 shown]
	v_sub_f16_e32 v77, v16, v18
	v_sub_f16_sdwa v78, v28, v16 dst_sel:DWORD dst_unused:UNUSED_PAD src0_sel:WORD_1 src1_sel:WORD_1
	v_sub_f16_sdwa v79, v20, v18 dst_sel:DWORD dst_unused:UNUSED_PAD src0_sel:WORD_1 src1_sel:WORD_1
	v_fma_f16 v65, v66, s9, v65
	v_fma_f16 v76, v77, s14, v76
	v_add_f16_e32 v78, v78, v79
	v_fma_f16 v65, v77, s8, v65
	v_fma_f16 v76, v78, s16, v76
	;; [unrolled: 1-line block ×3, first 2 shown]
	v_add_f16_sdwa v78, v28, v20 dst_sel:DWORD dst_unused:UNUSED_PAD src0_sel:WORD_1 src1_sel:WORD_1
	v_fma_f16 v30, v78, -0.5, v30
	v_fma_f16 v78, v77, s9, v30
	v_sub_f16_sdwa v28, v16, v28 dst_sel:DWORD dst_unused:UNUSED_PAD src0_sel:WORD_1 src1_sel:WORD_1
	v_sub_f16_sdwa v79, v18, v20 dst_sel:DWORD dst_unused:UNUSED_PAD src0_sel:WORD_1 src1_sel:WORD_1
	v_fma_f16 v30, v77, s15, v30
	v_fma_f16 v78, v66, s14, v78
	v_add_f16_e32 v28, v28, v79
	v_fma_f16 v30, v66, s8, v30
	v_fma_f16 v78, v28, s16, v78
	;; [unrolled: 1-line block ×3, first 2 shown]
	v_mul_f16_e32 v79, 0x34f2, v62
	v_mul_f16_e32 v30, 0x3a79, v64
	v_fma_f16 v79, v28, s9, -v79
	v_mul_f16_e32 v64, 0xb8b4, v64
	v_mul_f16_e32 v28, 0x34f2, v28
	v_fma_f16 v64, v76, s17, v64
	v_fma_f16 v28, v62, s15, -v28
	v_fma_f16 v30, v76, s8, v30
	v_mul_f16_e32 v82, 0x3a79, v39
	v_add_f16_e32 v84, v60, v64
	v_add_f16_e32 v62, v37, v28
	v_sub_f16_e32 v60, v60, v64
	v_sub_f16_e32 v64, v37, v28
	v_add_f16_e32 v28, v10, v12
	v_add_f16_e32 v66, v38, v30
	v_fma_f16 v82, v65, s8, -v82
	v_sub_f16_e32 v86, v38, v30
	v_fma_f16 v28, v28, -0.5, v34
	v_sub_f16_sdwa v30, v32, v14 dst_sel:DWORD dst_unused:UNUSED_PAD src0_sel:WORD_1 src1_sel:WORD_1
	v_add_f16_e32 v81, v36, v79
	v_add_f16_e32 v83, v33, v82
	v_sub_f16_e32 v87, v36, v79
	v_sub_f16_e32 v82, v33, v82
	v_fma_f16 v33, v30, s9, v28
	v_sub_f16_sdwa v36, v10, v12 dst_sel:DWORD dst_unused:UNUSED_PAD src0_sel:WORD_1 src1_sel:WORD_1
	v_sub_f16_e32 v37, v14, v12
	v_sub_f16_e32 v38, v32, v10
	v_fma_f16 v28, v30, s15, v28
	v_fma_f16 v33, v36, s8, v33
	v_add_f16_e32 v37, v38, v37
	v_fma_f16 v28, v36, s14, v28
	v_mul_f16_e32 v77, 0x3b9c, v78
	v_fma_f16 v33, v37, s16, v33
	v_fma_f16 v28, v37, s16, v28
	v_add_f16_e32 v37, v32, v14
	v_fma_f16 v77, v67, s16, v77
	v_mul_f16_e32 v67, 0xbb9c, v67
	v_mul_f16_e32 v65, 0x3a79, v65
	v_fma_f16 v37, v37, -0.5, v34
	v_fma_f16 v67, v78, s16, v67
	v_fma_f16 v39, v39, s14, -v65
	v_fma_f16 v38, v36, s15, v37
	v_fma_f16 v36, v36, s9, v37
	v_add_f16_e32 v85, v63, v67
	v_add_f16_e32 v65, v41, v39
	v_sub_f16_e32 v63, v63, v67
	v_sub_f16_e32 v67, v41, v39
	v_pk_add_f16 v88, v34, v32
	v_fma_f16 v38, v30, s8, v38
	v_sub_f16_e32 v39, v12, v14
	v_sub_f16_e32 v41, v10, v32
	v_fma_f16 v30, v30, s14, v36
	v_add_f16_sdwa v36, v10, v12 dst_sel:DWORD dst_unused:UNUSED_PAD src0_sel:WORD_1 src1_sel:WORD_1
	v_lshrrev_b32_e32 v34, 16, v34
	v_add_f16_e32 v39, v41, v39
	v_fma_f16 v36, v36, -0.5, v34
	v_sub_f16_e32 v37, v32, v14
	v_add_f16_e32 v80, v58, v77
	v_sub_f16_e32 v58, v58, v77
	v_fma_f16 v38, v39, s16, v38
	v_fma_f16 v30, v39, s16, v30
	;; [unrolled: 1-line block ×3, first 2 shown]
	v_sub_f16_e32 v41, v10, v12
	v_sub_f16_sdwa v76, v32, v10 dst_sel:DWORD dst_unused:UNUSED_PAD src0_sel:WORD_1 src1_sel:WORD_1
	v_sub_f16_sdwa v77, v14, v12 dst_sel:DWORD dst_unused:UNUSED_PAD src0_sel:WORD_1 src1_sel:WORD_1
	v_fma_f16 v36, v37, s9, v36
	v_fma_f16 v39, v41, s14, v39
	v_add_f16_e32 v76, v76, v77
	v_fma_f16 v36, v41, s8, v36
	v_fma_f16 v39, v76, s16, v39
	;; [unrolled: 1-line block ×3, first 2 shown]
	v_add_f16_sdwa v76, v32, v14 dst_sel:DWORD dst_unused:UNUSED_PAD src0_sel:WORD_1 src1_sel:WORD_1
	v_fma_f16 v34, v76, -0.5, v34
	v_fma_f16 v76, v41, s9, v34
	v_sub_f16_sdwa v32, v10, v32 dst_sel:DWORD dst_unused:UNUSED_PAD src0_sel:WORD_1 src1_sel:WORD_1
	v_sub_f16_sdwa v77, v12, v14 dst_sel:DWORD dst_unused:UNUSED_PAD src0_sel:WORD_1 src1_sel:WORD_1
	v_fma_f16 v34, v41, s15, v34
	v_fma_f16 v76, v37, s14, v76
	v_add_f16_e32 v32, v32, v77
	v_fma_f16 v34, v37, s8, v34
	v_fma_f16 v76, v32, s16, v76
	;; [unrolled: 1-line block ×3, first 2 shown]
	v_add_f16_e32 v34, v17, v19
	v_fma_f16 v34, v34, -0.5, v31
	v_sub_f16_sdwa v37, v29, v21 dst_sel:DWORD dst_unused:UNUSED_PAD src0_sel:WORD_1 src1_sel:WORD_1
	v_fma_f16 v41, v37, s9, v34
	v_sub_f16_sdwa v77, v17, v19 dst_sel:DWORD dst_unused:UNUSED_PAD src0_sel:WORD_1 src1_sel:WORD_1
	v_sub_f16_e32 v78, v21, v19
	v_sub_f16_e32 v79, v29, v17
	v_fma_f16 v34, v37, s15, v34
	v_fma_f16 v41, v77, s8, v41
	v_add_f16_e32 v78, v79, v78
	v_fma_f16 v34, v77, s14, v34
	v_fma_f16 v41, v78, s16, v41
	;; [unrolled: 1-line block ×3, first 2 shown]
	v_add_f16_e32 v78, v29, v21
	v_fma_f16 v78, v78, -0.5, v31
	v_fma_f16 v79, v77, s15, v78
	v_fma_f16 v77, v77, s9, v78
	v_pk_add_f16 v89, v31, v29
	v_fma_f16 v79, v37, s8, v79
	v_sub_f16_e32 v90, v19, v21
	v_sub_f16_e32 v91, v17, v29
	v_fma_f16 v37, v37, s14, v77
	v_add_f16_sdwa v77, v17, v19 dst_sel:DWORD dst_unused:UNUSED_PAD src0_sel:WORD_1 src1_sel:WORD_1
	v_lshrrev_b32_e32 v31, 16, v31
	v_add_f16_e32 v90, v91, v90
	v_fma_f16 v77, v77, -0.5, v31
	v_sub_f16_e32 v78, v29, v21
	v_fma_f16 v79, v90, s16, v79
	v_fma_f16 v37, v90, s16, v37
	;; [unrolled: 1-line block ×3, first 2 shown]
	v_sub_f16_e32 v91, v17, v19
	v_sub_f16_sdwa v92, v29, v17 dst_sel:DWORD dst_unused:UNUSED_PAD src0_sel:WORD_1 src1_sel:WORD_1
	v_sub_f16_sdwa v93, v21, v19 dst_sel:DWORD dst_unused:UNUSED_PAD src0_sel:WORD_1 src1_sel:WORD_1
	v_fma_f16 v77, v78, s9, v77
	v_fma_f16 v90, v91, s14, v90
	v_add_f16_e32 v92, v92, v93
	v_fma_f16 v77, v91, s8, v77
	v_fma_f16 v90, v92, s16, v90
	;; [unrolled: 1-line block ×3, first 2 shown]
	v_add_f16_sdwa v92, v29, v21 dst_sel:DWORD dst_unused:UNUSED_PAD src0_sel:WORD_1 src1_sel:WORD_1
	v_fma_f16 v31, v92, -0.5, v31
	v_fma_f16 v92, v91, s9, v31
	v_sub_f16_sdwa v29, v17, v29 dst_sel:DWORD dst_unused:UNUSED_PAD src0_sel:WORD_1 src1_sel:WORD_1
	v_sub_f16_sdwa v93, v19, v21 dst_sel:DWORD dst_unused:UNUSED_PAD src0_sel:WORD_1 src1_sel:WORD_1
	v_fma_f16 v31, v91, s15, v31
	v_fma_f16 v92, v78, s14, v92
	v_add_f16_e32 v29, v29, v93
	v_fma_f16 v31, v78, s8, v31
	v_fma_f16 v92, v29, s16, v92
	;; [unrolled: 1-line block ×3, first 2 shown]
	v_mul_f16_e32 v94, 0x34f2, v37
	v_mul_f16_e32 v96, 0x3a79, v34
	v_fma_f16 v94, v29, s9, -v94
	v_fma_f16 v96, v77, s8, -v96
	v_mul_f16_e32 v29, 0x34f2, v29
	v_mul_f16_e32 v31, 0x3a79, v41
	v_add_f16_e32 v97, v28, v96
	v_fma_f16 v29, v37, s15, -v29
	v_sub_f16_e32 v96, v28, v96
	v_add_f16_e32 v28, v0, v4
	v_fma_f16 v31, v90, s8, v31
	v_add_f16_e32 v98, v32, v29
	v_sub_f16_e32 v105, v32, v29
	v_fma_f16 v28, v28, -0.5, v2
	v_sub_f16_sdwa v29, v6, v8 dst_sel:DWORD dst_unused:UNUSED_PAD src0_sel:WORD_1 src1_sel:WORD_1
	v_add_f16_e32 v91, v33, v31
	v_add_f16_e32 v95, v30, v94
	v_sub_f16_e32 v100, v33, v31
	v_sub_f16_e32 v94, v30, v94
	v_fma_f16 v30, v29, s9, v28
	v_sub_f16_sdwa v32, v0, v4 dst_sel:DWORD dst_unused:UNUSED_PAD src0_sel:WORD_1 src1_sel:WORD_1
	v_sub_f16_e32 v31, v8, v4
	v_sub_f16_e32 v33, v6, v0
	v_fma_f16 v28, v29, s15, v28
	v_fma_f16 v30, v32, s8, v30
	v_add_f16_e32 v31, v33, v31
	v_fma_f16 v28, v32, s14, v28
	v_mul_f16_e32 v37, 0x3a79, v77
	v_fma_f16 v30, v31, s16, v30
	v_fma_f16 v31, v31, s16, v28
	v_add_f16_e32 v28, v6, v8
	v_fma_f16 v34, v34, s14, -v37
	v_fma_f16 v28, v28, -0.5, v2
	v_add_f16_e32 v99, v36, v34
	v_sub_f16_e32 v106, v36, v34
	v_fma_f16 v33, v32, s15, v28
	v_sub_f16_e32 v34, v4, v8
	v_sub_f16_e32 v36, v0, v6
	v_fma_f16 v28, v32, s9, v28
	v_fma_f16 v33, v29, s8, v33
	v_add_f16_e32 v36, v36, v34
	v_fma_f16 v28, v29, s14, v28
	v_mul_f16_e32 v41, 0xb8b4, v41
	v_fma_f16 v34, v36, s16, v33
	v_fma_f16 v36, v36, s16, v28
	v_add_f16_sdwa v28, v0, v4 dst_sel:DWORD dst_unused:UNUSED_PAD src0_sel:WORD_1 src1_sel:WORD_1
	v_lshrrev_b32_e32 v29, 16, v2
	v_sub_f16_sdwa v32, v6, v0 dst_sel:DWORD dst_unused:UNUSED_PAD src0_sel:WORD_1 src1_sel:WORD_1
	v_sub_f16_sdwa v33, v8, v4 dst_sel:DWORD dst_unused:UNUSED_PAD src0_sel:WORD_1 src1_sel:WORD_1
	v_fma_f16 v41, v90, s17, v41
	v_fma_f16 v28, v28, -0.5, v29
	v_add_f16_e32 v32, v32, v33
	v_sub_f16_e32 v33, v6, v8
	v_mul_f16_e32 v78, 0x3b9c, v92
	v_add_f16_e32 v90, v39, v41
	v_sub_f16_e32 v102, v39, v41
	v_fma_f16 v37, v33, s15, v28
	v_sub_f16_e32 v39, v0, v4
	v_fma_f16 v28, v33, s9, v28
	v_fma_f16 v78, v79, s16, v78
	;; [unrolled: 1-line block ×3, first 2 shown]
	v_add_f16_e32 v93, v38, v78
	v_sub_f16_e32 v101, v38, v78
	v_fma_f16 v37, v39, s14, v37
	v_fma_f16 v38, v32, s16, v28
	v_add_f16_sdwa v28, v6, v8 dst_sel:DWORD dst_unused:UNUSED_PAD src0_sel:WORD_1 src1_sel:WORD_1
	v_fma_f16 v37, v32, s16, v37
	v_fma_f16 v28, v28, -0.5, v29
	v_sub_f16_sdwa v29, v0, v6 dst_sel:DWORD dst_unused:UNUSED_PAD src0_sel:WORD_1 src1_sel:WORD_1
	v_sub_f16_sdwa v32, v4, v8 dst_sel:DWORD dst_unused:UNUSED_PAD src0_sel:WORD_1 src1_sel:WORD_1
	v_add_f16_e32 v29, v29, v32
	v_fma_f16 v32, v39, s9, v28
	v_fma_f16 v28, v39, s15, v28
	;; [unrolled: 1-line block ×3, first 2 shown]
	v_pk_add_f16 v22, v40, v22
	v_pk_add_f16 v11, v45, v11
	v_fma_f16 v28, v33, s8, v28
	v_fma_f16 v39, v29, s16, v32
	v_add_f16_e32 v32, v1, v5
	v_pk_add_f16 v22, v22, v24
	v_pk_add_f16 v11, v11, v13
	v_fma_f16 v41, v29, s16, v28
	v_pack_b32_f16 v29, v59, v48
	v_fma_f16 v48, v32, -0.5, v3
	v_mul_lo_u16_e32 v32, 10, v72
	v_pk_add_f16 v22, v22, v26
	v_pk_add_f16 v11, v11, v15
	v_pack_b32_f16 v28, v57, v56
	v_lshlrev_b32_e32 v151, 2, v32
	v_pack_b32_f16 v33, v52, v54
	v_pk_add_f16 v32, v22, v11
	v_sub_f16_sdwa v13, v7, v9 dst_sel:DWORD dst_unused:UNUSED_PAD src0_sel:WORD_1 src1_sel:WORD_1
	v_sub_f16_e32 v24, v9, v5
	v_sub_f16_e32 v26, v7, v1
	s_waitcnt lgkmcnt(0)
	; wave barrier
	ds_write2_b64 v151, v[32:33], v[28:29] offset1:1
	v_fma_f16 v15, v13, s9, v48
	v_add_f16_e32 v24, v26, v24
	v_sub_f16_sdwa v26, v1, v5 dst_sel:DWORD dst_unused:UNUSED_PAD src0_sel:WORD_1 src1_sel:WORD_1
	v_fma_f16 v28, v13, s15, v48
	v_fma_f16 v15, v26, s8, v15
	;; [unrolled: 1-line block ×5, first 2 shown]
	v_sub_f16_e32 v24, v5, v9
	v_sub_f16_e32 v28, v1, v7
	v_add_f16_e32 v24, v28, v24
	v_add_f16_e32 v28, v7, v9
	v_fma_f16 v28, v28, -0.5, v3
	v_fma_f16 v29, v26, s15, v28
	v_fma_f16 v26, v26, s9, v28
	v_fma_f16 v32, v13, s8, v29
	v_fma_f16 v13, v13, s14, v26
	v_fma_f16 v45, v24, s16, v13
	v_add_f16_sdwa v13, v1, v5 dst_sel:DWORD dst_unused:UNUSED_PAD src0_sel:WORD_1 src1_sel:WORD_1
	v_pk_add_f16 v33, v22, v11 neg_lo:[0,1] neg_hi:[0,1]
	v_lshrrev_b32_e32 v11, 16, v3
	v_pack_b32_f16 v28, v43, v47
	v_pack_b32_f16 v29, v46, v49
	v_fma_f16 v26, v24, s16, v32
	v_pack_b32_f16 v32, v61, v51
	v_fma_f16 v13, v13, -0.5, v11
	v_sub_f16_e32 v22, v7, v9
	ds_write2_b64 v151, v[32:33], v[28:29] offset0:2 offset1:3
	v_fma_f16 v24, v22, s15, v13
	v_sub_f16_e32 v28, v1, v5
	v_sub_f16_sdwa v29, v7, v1 dst_sel:DWORD dst_unused:UNUSED_PAD src0_sel:WORD_1 src1_sel:WORD_1
	v_sub_f16_sdwa v32, v9, v5 dst_sel:DWORD dst_unused:UNUSED_PAD src0_sel:WORD_1 src1_sel:WORD_1
	v_fma_f16 v13, v22, s9, v13
	v_add_f16_e32 v29, v29, v32
	v_fma_f16 v13, v28, s8, v13
	v_fma_f16 v24, v28, s14, v24
	;; [unrolled: 1-line block ×3, first 2 shown]
	v_add_f16_sdwa v13, v7, v9 dst_sel:DWORD dst_unused:UNUSED_PAD src0_sel:WORD_1 src1_sel:WORD_1
	v_fma_f16 v24, v29, s16, v24
	v_fma_f16 v11, v13, -0.5, v11
	v_sub_f16_sdwa v13, v1, v7 dst_sel:DWORD dst_unused:UNUSED_PAD src0_sel:WORD_1 src1_sel:WORD_1
	v_sub_f16_sdwa v29, v5, v9 dst_sel:DWORD dst_unused:UNUSED_PAD src0_sel:WORD_1 src1_sel:WORD_1
	s_mov_b64 s[18:19], 0x78
	v_add_f16_e32 v13, v13, v29
	v_fma_f16 v29, v28, s9, v11
	v_fma_f16 v11, v28, s15, v11
	;; [unrolled: 1-line block ×4, first 2 shown]
	v_lshl_add_u64 v[28:29], v[72:73], 0, s[18:19]
	v_fma_f16 v22, v13, s16, v47
	v_fma_f16 v29, v13, s16, v11
	v_mul_f16_e32 v11, 0x3a79, v15
	v_mul_f16_e32 v13, 0xb8b4, v15
	v_pk_add_f16 v23, v35, v23
	v_pk_add_f16 v16, v53, v16
	v_lshl_add_u64 v[48:49], v[72:73], 0, 60
	v_fma_f16 v11, v24, s8, v11
	v_fma_f16 v15, v24, s17, v13
	v_mul_f16_e32 v13, 0x3b9c, v22
	v_mul_f16_e32 v24, 0xbb9c, v26
	v_pk_add_f16 v23, v23, v25
	v_pk_add_f16 v16, v16, v18
	;; [unrolled: 1-line block ×3, first 2 shown]
	v_mul_f16_e32 v79, 0xbb9c, v79
	v_pack_b32_f16 v43, v55, v44
	v_pack_b32_f16 v42, v42, v50
	v_fma_f16 v13, v26, s16, v13
	v_fma_f16 v24, v22, s16, v24
	v_mul_f16_e32 v22, 0x34f2, v45
	v_mul_f16_e32 v26, 0x34f2, v29
	v_pk_add_f16 v23, v23, v27
	v_mul_u32_u24_e32 v25, 10, v48
	v_pk_add_f16 v16, v16, v20
	v_pk_add_f16 v10, v10, v12
	;; [unrolled: 1-line block ×3, first 2 shown]
	v_fma_f16 v79, v92, s16, v79
	s_mov_b64 s[18:19], 0xb4
	v_fma_f16 v22, v29, s9, -v22
	v_fma_f16 v29, v45, s15, -v26
	ds_write_b64 v151, v[42:43] offset:32
	v_lshlrev_b32_e32 v156, 2, v25
	v_pack_b32_f16 v43, v66, v84
	v_pk_add_f16 v42, v23, v16
	v_pack_b32_f16 v45, v81, v62
	v_pack_b32_f16 v44, v80, v85
	v_pk_add_f16 v12, v12, v19
	v_add_f16_e32 v92, v76, v79
	v_lshl_add_u64 v[32:33], v[72:73], 0, s[18:19]
	ds_write2_b64 v156, v[42:43], v[44:45] offset1:1
	v_pk_add_f16 v43, v23, v16 neg_lo:[0,1] neg_hi:[0,1]
	v_pack_b32_f16 v44, v86, v60
	v_pack_b32_f16 v45, v58, v63
	;; [unrolled: 1-line block ×3, first 2 shown]
	v_mul_u32_u24_e32 v16, 10, v28
	v_pk_add_f16 v10, v10, v14
	v_pk_add_f16 v12, v12, v21
	v_sub_f16_e32 v103, v76, v79
	v_mul_f16_e32 v26, 0x3a79, v40
	v_mul_f16_e32 v33, 0x3a79, v46
	ds_write2_b64 v156, v[42:43], v[44:45] offset0:2 offset1:3
	v_pack_b32_f16 v43, v82, v67
	v_pack_b32_f16 v42, v87, v64
	v_lshlrev_b32_e32 v157, 2, v16
	v_pk_add_f16 v16, v10, v12
	v_pack_b32_f16 v17, v91, v90
	v_pack_b32_f16 v19, v95, v98
	;; [unrolled: 1-line block ×3, first 2 shown]
	v_fma_f16 v26, v46, s8, -v26
	v_fma_f16 v33, v40, s14, -v33
	ds_write_b64 v156, v[42:43] offset:32
	ds_write2_b64 v157, v[16:17], v[18:19] offset1:1
	v_pk_add_f16 v17, v10, v12 neg_lo:[0,1] neg_hi:[0,1]
	v_pack_b32_f16 v18, v100, v102
	v_pack_b32_f16 v19, v101, v103
	;; [unrolled: 1-line block ×3, first 2 shown]
	v_sub_f16_e32 v76, v30, v11
	v_sub_f16_e32 v77, v34, v13
	;; [unrolled: 1-line block ×8, first 2 shown]
	ds_write2_b64 v157, v[16:17], v[18:19] offset0:2 offset1:3
	v_pack_b32_f16 v17, v96, v106
	v_pack_b32_f16 v16, v94, v105
	v_mul_u32_u24_e32 v73, 10, v32
	ds_write_b64 v157, v[16:17] offset:32
	s_and_saveexec_b64 s[8:9], s[2:3]
	s_cbranch_execz .LBB0_7
; %bb.6:
	v_pk_add_f16 v2, v2, v6
	v_pk_add_f16 v3, v3, v7
	;; [unrolled: 1-line block ×3, first 2 shown]
	v_add_f16_e32 v7, v41, v29
	v_pk_add_f16 v0, v0, v4
	v_add_f16_e32 v10, v39, v24
	v_pk_add_f16 v4, v0, v8
	v_pk_add_f16 v0, v3, v1
	v_add_f16_e32 v12, v37, v15
	v_pk_add_f16 v0, v0, v5
	v_add_f16_e32 v15, v36, v22
	v_add_f16_e32 v13, v34, v13
	;; [unrolled: 1-line block ×3, first 2 shown]
	v_pk_add_f16 v5, v0, v9
	v_add_f16_e32 v6, v38, v33
	v_add_f16_e32 v14, v31, v26
	v_lshlrev_b32_e32 v16, 2, v73
	v_pk_add_f16 v0, v4, v5
	v_pack_b32_f16 v3, v15, v7
	v_pack_b32_f16 v2, v13, v10
	;; [unrolled: 1-line block ×3, first 2 shown]
	s_mov_b32 s14, 0x5040100
	ds_write2_b64 v16, v[0:1], v[2:3] offset1:1
	v_pk_add_f16 v1, v4, v5 neg_lo:[0,1] neg_hi:[0,1]
	v_perm_b32 v3, v149, v77, s14
	v_perm_b32 v2, v146, v76, s14
	v_pack_b32_f16 v0, v14, v6
	ds_write2_b64 v16, v[0:1], v[2:3] offset0:2 offset1:3
	v_perm_b32 v1, v150, v79, s14
	v_perm_b32 v0, v148, v78, s14
	ds_write_b64 v16, v[0:1] offset:32
.LBB0_7:
	s_or_b64 exec, exec, s[8:9]
	s_movk_i32 s14, 0xcd
	v_mul_lo_u16_sdwa v0, v72, s14 dst_sel:DWORD dst_unused:UNUSED_PAD src0_sel:BYTE_0 src1_sel:DWORD
	v_lshrrev_b16_e32 v29, 11, v0
	v_mul_lo_u16_e32 v0, 10, v29
	v_sub_u16_e32 v0, v72, v0
	v_and_b32_e32 v33, 0xff, v0
	v_mad_u64_u32 v[4:5], s[8:9], v33, 20, s[0:1]
	s_waitcnt lgkmcnt(0)
	; wave barrier
	s_waitcnt lgkmcnt(0)
	global_load_dwordx4 v[0:3], v[4:5], off
	v_add_u32_e32 v105, 0x400, v68
	v_add_u32_e32 v177, 0xa00, v68
	;; [unrolled: 1-line block ×8, first 2 shown]
	ds_read2_b32 v[26:27], v68 offset1:60
	ds_read2_b32 v[36:37], v105 offset0:104 offset1:164
	ds_read2_b32 v[38:39], v177 offset0:80 offset1:140
	;; [unrolled: 1-line block ×11, first 2 shown]
	global_load_dword v147, v[4:5], off offset:16
	v_mul_lo_u16_sdwa v4, v48, s14 dst_sel:DWORD dst_unused:UNUSED_PAD src0_sel:BYTE_0 src1_sel:DWORD
	v_lshrrev_b16_e32 v66, 11, v4
	v_mul_lo_u16_e32 v4, 10, v66
	v_sub_u16_e32 v4, v48, v4
	v_and_b32_e32 v67, 0xff, v4
	v_mad_u64_u32 v[8:9], s[8:9], v67, 20, s[0:1]
	global_load_dwordx4 v[4:7], v[8:9], off
	v_add_u32_e32 v110, 0x200, v68
	v_add_u32_e32 v108, 0x800, v68
	ds_read2_b32 v[24:25], v110 offset0:112 offset1:172
	ds_read2_b32 v[62:63], v108 offset0:88 offset1:148
	;; [unrolled: 1-line block ×5, first 2 shown]
	global_load_dword v152, v[8:9], off offset:16
	v_mul_lo_u16_sdwa v8, v28, s14 dst_sel:DWORD dst_unused:UNUSED_PAD src0_sel:BYTE_0 src1_sel:DWORD
	v_lshrrev_b16_e32 v82, 11, v8
	v_mul_lo_u16_e32 v8, 10, v82
	v_sub_u16_e32 v8, v28, v8
	v_and_b32_e32 v83, 0xff, v8
	v_mad_u64_u32 v[12:13], s[8:9], v83, 20, s[0:1]
	global_load_dwordx4 v[8:11], v[12:13], off
	global_load_dword v153, v[12:13], off offset:16
	v_mul_lo_u16_sdwa v12, v32, s14 dst_sel:DWORD dst_unused:UNUSED_PAD src0_sel:BYTE_0 src1_sel:DWORD
	v_lshrrev_b16_e32 v84, 11, v12
	v_mul_lo_u16_e32 v12, 10, v84
	v_sub_u16_e32 v12, v32, v12
	v_and_b32_e32 v85, 0xff, v12
	v_mad_u64_u32 v[16:17], s[8:9], v85, 20, s[0:1]
	v_add_u32_e32 v90, 0xf0, v72
	s_mov_b32 s8, 0xcccd
	s_waitcnt lgkmcnt(14)
	v_lshrrev_b32_e32 v18, 16, v36
	global_load_dwordx4 v[12:15], v[16:17], off
	global_load_dword v154, v[16:17], off offset:16
	v_mul_u32_u24_sdwa v16, v90, s8 dst_sel:DWORD dst_unused:UNUSED_PAD src0_sel:WORD_0 src1_sel:DWORD
	v_lshrrev_b32_e32 v173, 19, v16
	v_lshrrev_b32_e32 v19, 16, v38
	v_mul_lo_u16_e32 v16, 10, v173
	v_sub_u16_e32 v174, v90, v16
	s_waitcnt lgkmcnt(13)
	v_lshrrev_b32_e32 v22, 16, v40
	v_mul_lo_u16_e32 v80, 20, v174
	v_mov_b32_e32 v81, 0
	v_add_u32_e32 v49, 0x12c, v72
	s_waitcnt lgkmcnt(12)
	v_lshrrev_b32_e32 v23, 16, v42
	s_waitcnt lgkmcnt(11)
	v_lshrrev_b32_e32 v86, 16, v34
	v_lshrrev_b32_e32 v91, 16, v37
	;; [unrolled: 1-line block ×6, first 2 shown]
	s_waitcnt lgkmcnt(8)
	v_lshrrev_b32_e32 v98, 16, v50
	v_lshrrev_b32_e32 v97, 16, v54
	s_waitcnt lgkmcnt(7)
	v_lshrrev_b32_e32 v99, 16, v44
	v_lshrrev_b32_e32 v103, 16, v55
	v_add_u32_e32 v181, 0x1e00, v68
	s_waitcnt lgkmcnt(6)
	v_lshrrev_b32_e32 v100, 16, v52
	s_waitcnt lgkmcnt(5)
	v_lshrrev_b32_e32 v101, 16, v46
	ds_read2_b32 v[56:57], v181 offset0:120 offset1:180
	v_lshrrev_b32_e32 v111, 16, v51
	s_waitcnt vmcnt(7)
	v_mul_f16_sdwa v20, v18, v0 dst_sel:DWORD dst_unused:UNUSED_PAD src0_sel:DWORD src1_sel:WORD_1
	v_fma_f16 v170, v36, v0, -v20
	v_mul_f16_sdwa v20, v36, v0 dst_sel:DWORD dst_unused:UNUSED_PAD src0_sel:DWORD src1_sel:WORD_1
	v_fma_f16 v36, v18, v0, v20
	v_mul_f16_sdwa v18, v19, v1 dst_sel:DWORD dst_unused:UNUSED_PAD src0_sel:DWORD src1_sel:WORD_1
	v_fma_f16 v171, v38, v1, -v18
	v_mul_f16_sdwa v18, v38, v1 dst_sel:DWORD dst_unused:UNUSED_PAD src0_sel:DWORD src1_sel:WORD_1
	v_fma_f16 v38, v19, v1, v18
	v_mul_f16_sdwa v18, v22, v2 dst_sel:DWORD dst_unused:UNUSED_PAD src0_sel:DWORD src1_sel:WORD_1
	v_lshl_add_u64 v[20:21], s[0:1], 0, v[80:81]
	v_fma_f16 v172, v40, v2, -v18
	global_load_dwordx4 v[16:19], v[20:21], off
	global_load_dword v155, v[20:21], off offset:16
	v_mul_f16_sdwa v40, v40, v2 dst_sel:DWORD dst_unused:UNUSED_PAD src0_sel:DWORD src1_sel:WORD_1
	v_mul_u32_u24_sdwa v20, v49, s8 dst_sel:DWORD dst_unused:UNUSED_PAD src0_sel:WORD_0 src1_sel:DWORD
	v_fma_f16 v40, v22, v2, v40
	v_mul_f16_sdwa v22, v23, v3 dst_sel:DWORD dst_unused:UNUSED_PAD src0_sel:DWORD src1_sel:WORD_1
	v_lshrrev_b32_e32 v183, 19, v20
	v_fma_f16 v175, v42, v3, -v22
	v_mul_f16_sdwa v22, v42, v3 dst_sel:DWORD dst_unused:UNUSED_PAD src0_sel:DWORD src1_sel:WORD_1
	v_mul_lo_u16_e32 v20, 10, v183
	v_fma_f16 v42, v23, v3, v22
	s_waitcnt vmcnt(8)
	v_mul_f16_sdwa v22, v86, v147 dst_sel:DWORD dst_unused:UNUSED_PAD src0_sel:DWORD src1_sel:WORD_1
	v_sub_u16_e32 v184, v49, v20
	v_fma_f16 v176, v34, v147, -v22
	v_mul_f16_sdwa v22, v34, v147 dst_sel:DWORD dst_unused:UNUSED_PAD src0_sel:DWORD src1_sel:WORD_1
	v_mul_lo_u16_e32 v80, 20, v184
	v_fma_f16 v34, v86, v147, v22
	s_waitcnt vmcnt(7)
	v_mul_f16_sdwa v22, v91, v4 dst_sel:DWORD dst_unused:UNUSED_PAD src0_sel:DWORD src1_sel:WORD_1
	v_lshl_add_u64 v[86:87], s[0:1], 0, v[80:81]
	v_fma_f16 v182, v37, v4, -v22
	global_load_dwordx4 v[20:23], v[86:87], off
	global_load_dword v158, v[86:87], off offset:16
	v_mul_f16_sdwa v37, v37, v4 dst_sel:DWORD dst_unused:UNUSED_PAD src0_sel:DWORD src1_sel:WORD_1
	v_fma_f16 v37, v91, v4, v37
	v_mul_f16_sdwa v91, v93, v6 dst_sel:DWORD dst_unused:UNUSED_PAD src0_sel:DWORD src1_sel:WORD_1
	v_mul_f16_sdwa v80, v92, v5 dst_sel:DWORD dst_unused:UNUSED_PAD src0_sel:DWORD src1_sel:WORD_1
	v_fma_f16 v91, v41, v6, -v91
	v_mul_f16_sdwa v41, v41, v6 dst_sel:DWORD dst_unused:UNUSED_PAD src0_sel:DWORD src1_sel:WORD_1
	v_fma_f16 v80, v39, v5, -v80
	v_mul_f16_sdwa v39, v39, v5 dst_sel:DWORD dst_unused:UNUSED_PAD src0_sel:DWORD src1_sel:WORD_1
	v_fma_f16 v41, v93, v6, v41
	s_waitcnt vmcnt(8)
	v_mul_f16_sdwa v93, v95, v152 dst_sel:DWORD dst_unused:UNUSED_PAD src0_sel:DWORD src1_sel:WORD_1
	v_fma_f16 v39, v92, v5, v39
	v_mul_f16_sdwa v92, v94, v7 dst_sel:DWORD dst_unused:UNUSED_PAD src0_sel:DWORD src1_sel:WORD_1
	v_fma_f16 v86, v35, v152, -v93
	s_waitcnt vmcnt(7)
	v_mul_f16_sdwa v93, v98, v9 dst_sel:DWORD dst_unused:UNUSED_PAD src0_sel:DWORD src1_sel:WORD_1
	v_fma_f16 v92, v43, v7, -v92
	v_mul_f16_sdwa v43, v43, v7 dst_sel:DWORD dst_unused:UNUSED_PAD src0_sel:DWORD src1_sel:WORD_1
	v_mul_f16_sdwa v87, v97, v8 dst_sel:DWORD dst_unused:UNUSED_PAD src0_sel:DWORD src1_sel:WORD_1
	v_fma_f16 v93, v50, v9, -v93
	v_mul_f16_sdwa v50, v50, v9 dst_sel:DWORD dst_unused:UNUSED_PAD src0_sel:DWORD src1_sel:WORD_1
	v_fma_f16 v43, v94, v7, v43
	v_mul_f16_sdwa v35, v35, v152 dst_sel:DWORD dst_unused:UNUSED_PAD src0_sel:DWORD src1_sel:WORD_1
	v_fma_f16 v87, v54, v8, -v87
	v_mul_f16_sdwa v54, v54, v8 dst_sel:DWORD dst_unused:UNUSED_PAD src0_sel:DWORD src1_sel:WORD_1
	v_fma_f16 v50, v98, v9, v50
	v_mul_f16_sdwa v94, v99, v10 dst_sel:DWORD dst_unused:UNUSED_PAD src0_sel:DWORD src1_sel:WORD_1
	s_waitcnt vmcnt(5)
	v_mul_f16_sdwa v98, v103, v12 dst_sel:DWORD dst_unused:UNUSED_PAD src0_sel:DWORD src1_sel:WORD_1
	v_lshrrev_b32_e32 v114, 16, v47
	v_fma_f16 v35, v95, v152, v35
	v_fma_f16 v54, v97, v8, v54
	v_fma_f16 v94, v44, v10, -v94
	v_mul_f16_sdwa v44, v44, v10 dst_sel:DWORD dst_unused:UNUSED_PAD src0_sel:DWORD src1_sel:WORD_1
	v_mul_f16_sdwa v95, v100, v11 dst_sel:DWORD dst_unused:UNUSED_PAD src0_sel:DWORD src1_sel:WORD_1
	;; [unrolled: 1-line block ×3, first 2 shown]
	v_fma_f16 v98, v55, v12, -v98
	v_mul_f16_sdwa v55, v55, v12 dst_sel:DWORD dst_unused:UNUSED_PAD src0_sel:DWORD src1_sel:WORD_1
	v_lshrrev_b32_e32 v112, 16, v45
	v_lshrrev_b32_e32 v113, 16, v53
	v_fma_f16 v44, v99, v10, v44
	v_fma_f16 v95, v52, v11, -v95
	v_mul_f16_sdwa v52, v52, v11 dst_sel:DWORD dst_unused:UNUSED_PAD src0_sel:DWORD src1_sel:WORD_1
	v_fma_f16 v97, v46, v153, -v97
	v_mul_f16_sdwa v46, v46, v153 dst_sel:DWORD dst_unused:UNUSED_PAD src0_sel:DWORD src1_sel:WORD_1
	v_fma_f16 v55, v103, v12, v55
	v_mul_f16_sdwa v99, v111, v13 dst_sel:DWORD dst_unused:UNUSED_PAD src0_sel:DWORD src1_sel:WORD_1
	s_waitcnt vmcnt(4)
	v_mul_f16_sdwa v103, v114, v154 dst_sel:DWORD dst_unused:UNUSED_PAD src0_sel:DWORD src1_sel:WORD_1
	s_waitcnt lgkmcnt(4)
	v_lshrrev_b32_e32 v159, 16, v62
	s_waitcnt lgkmcnt(1)
	v_lshrrev_b32_e32 v162, 16, v58
	v_fma_f16 v52, v100, v11, v52
	v_fma_f16 v46, v101, v153, v46
	v_fma_f16 v99, v51, v13, -v99
	v_mul_f16_sdwa v51, v51, v13 dst_sel:DWORD dst_unused:UNUSED_PAD src0_sel:DWORD src1_sel:WORD_1
	v_mul_f16_sdwa v100, v112, v14 dst_sel:DWORD dst_unused:UNUSED_PAD src0_sel:DWORD src1_sel:WORD_1
	;; [unrolled: 1-line block ×3, first 2 shown]
	v_fma_f16 v103, v47, v154, -v103
	v_mul_f16_sdwa v47, v47, v154 dst_sel:DWORD dst_unused:UNUSED_PAD src0_sel:DWORD src1_sel:WORD_1
	v_lshrrev_b32_e32 v160, 16, v64
	v_lshrrev_b32_e32 v161, 16, v60
	v_fma_f16 v51, v111, v13, v51
	v_fma_f16 v100, v45, v14, -v100
	v_mul_f16_sdwa v45, v45, v14 dst_sel:DWORD dst_unused:UNUSED_PAD src0_sel:DWORD src1_sel:WORD_1
	v_fma_f16 v101, v53, v15, -v101
	v_mul_f16_sdwa v53, v53, v15 dst_sel:DWORD dst_unused:UNUSED_PAD src0_sel:DWORD src1_sel:WORD_1
	v_fma_f16 v47, v114, v154, v47
	s_waitcnt vmcnt(3)
	v_mul_f16_sdwa v111, v159, v16 dst_sel:DWORD dst_unused:UNUSED_PAD src0_sel:DWORD src1_sel:WORD_1
	v_mul_f16_sdwa v114, v162, v19 dst_sel:DWORD dst_unused:UNUSED_PAD src0_sel:DWORD src1_sel:WORD_1
	s_waitcnt lgkmcnt(0)
	v_lshrrev_b32_e32 v163, 16, v56
	v_lshrrev_b32_e32 v167, 16, v61
	v_fma_f16 v45, v112, v14, v45
	v_fma_f16 v53, v113, v15, v53
	v_fma_f16 v111, v62, v16, -v111
	v_mul_f16_sdwa v62, v62, v16 dst_sel:DWORD dst_unused:UNUSED_PAD src0_sel:DWORD src1_sel:WORD_1
	v_mul_f16_sdwa v112, v160, v17 dst_sel:DWORD dst_unused:UNUSED_PAD src0_sel:DWORD src1_sel:WORD_1
	;; [unrolled: 1-line block ×3, first 2 shown]
	v_fma_f16 v114, v58, v19, -v114
	v_mul_f16_sdwa v58, v58, v19 dst_sel:DWORD dst_unused:UNUSED_PAD src0_sel:DWORD src1_sel:WORD_1
	v_lshrrev_b32_e32 v165, 16, v63
	v_lshrrev_b32_e32 v166, 16, v65
	v_fma_f16 v62, v159, v16, v62
	v_fma_f16 v112, v64, v17, -v112
	v_mul_f16_sdwa v64, v64, v17 dst_sel:DWORD dst_unused:UNUSED_PAD src0_sel:DWORD src1_sel:WORD_1
	v_fma_f16 v113, v60, v18, -v113
	v_mul_f16_sdwa v60, v60, v18 dst_sel:DWORD dst_unused:UNUSED_PAD src0_sel:DWORD src1_sel:WORD_1
	v_fma_f16 v58, v162, v19, v58
	s_waitcnt vmcnt(2)
	v_mul_f16_sdwa v159, v163, v155 dst_sel:DWORD dst_unused:UNUSED_PAD src0_sel:DWORD src1_sel:WORD_1
	s_waitcnt vmcnt(1)
	v_mul_f16_sdwa v162, v167, v22 dst_sel:DWORD dst_unused:UNUSED_PAD src0_sel:DWORD src1_sel:WORD_1
	v_lshrrev_b32_e32 v168, 16, v59
	v_fma_f16 v64, v160, v17, v64
	v_fma_f16 v60, v161, v18, v60
	v_fma_f16 v159, v56, v155, -v159
	v_mul_f16_sdwa v56, v56, v155 dst_sel:DWORD dst_unused:UNUSED_PAD src0_sel:DWORD src1_sel:WORD_1
	v_mul_f16_sdwa v160, v165, v20 dst_sel:DWORD dst_unused:UNUSED_PAD src0_sel:DWORD src1_sel:WORD_1
	;; [unrolled: 1-line block ×3, first 2 shown]
	v_fma_f16 v162, v61, v22, -v162
	v_mul_f16_sdwa v61, v61, v22 dst_sel:DWORD dst_unused:UNUSED_PAD src0_sel:DWORD src1_sel:WORD_1
	v_lshrrev_b32_e32 v169, 16, v57
	v_fma_f16 v56, v163, v155, v56
	v_fma_f16 v160, v63, v20, -v160
	v_mul_f16_sdwa v63, v63, v20 dst_sel:DWORD dst_unused:UNUSED_PAD src0_sel:DWORD src1_sel:WORD_1
	v_fma_f16 v161, v65, v21, -v161
	v_mul_f16_sdwa v65, v65, v21 dst_sel:DWORD dst_unused:UNUSED_PAD src0_sel:DWORD src1_sel:WORD_1
	v_fma_f16 v61, v167, v22, v61
	v_mul_f16_sdwa v163, v168, v23 dst_sel:DWORD dst_unused:UNUSED_PAD src0_sel:DWORD src1_sel:WORD_1
	v_add_f16_e32 v167, v171, v175
	v_lshrrev_b32_e32 v88, 16, v26
	v_fma_f16 v63, v165, v20, v63
	v_fma_f16 v65, v166, v21, v65
	v_fma_f16 v163, v59, v23, -v163
	v_mul_f16_sdwa v59, v59, v23 dst_sel:DWORD dst_unused:UNUSED_PAD src0_sel:DWORD src1_sel:WORD_1
	s_waitcnt vmcnt(0)
	v_mul_f16_sdwa v165, v169, v158 dst_sel:DWORD dst_unused:UNUSED_PAD src0_sel:DWORD src1_sel:WORD_1
	v_add_f16_e32 v166, v26, v171
	v_fma_f16 v26, v167, -0.5, v26
	v_sub_f16_e32 v167, v38, v42
	s_movk_i32 s9, 0x3aee
	s_mov_b32 s8, 0xbaee
	v_fma_f16 v59, v168, v23, v59
	v_fma_f16 v165, v57, v158, -v165
	v_mul_f16_sdwa v57, v57, v158 dst_sel:DWORD dst_unused:UNUSED_PAD src0_sel:DWORD src1_sel:WORD_1
	v_fma_f16 v168, v167, s9, v26
	v_fma_f16 v26, v167, s8, v26
	v_add_f16_e32 v167, v88, v38
	v_add_f16_e32 v38, v38, v42
	v_fma_f16 v57, v169, v158, v57
	v_add_f16_e32 v167, v167, v42
	v_fma_f16 v38, v38, -0.5, v88
	v_sub_f16_e32 v42, v171, v175
	v_add_f16_e32 v169, v172, v176
	v_fma_f16 v88, v42, s8, v38
	v_fma_f16 v38, v42, s9, v38
	v_add_f16_e32 v42, v170, v172
	v_fma_f16 v169, v169, -0.5, v170
	v_sub_f16_e32 v170, v40, v34
	v_fma_f16 v171, v170, s9, v169
	v_fma_f16 v169, v170, s8, v169
	v_add_f16_e32 v170, v36, v40
	v_add_f16_e32 v170, v170, v34
	;; [unrolled: 1-line block ×3, first 2 shown]
	v_fma_f16 v34, v34, -0.5, v36
	v_sub_f16_e32 v36, v172, v176
	v_fma_f16 v40, v36, s8, v34
	v_mul_f16_e32 v172, 0x3aee, v40
	v_add_f16_e32 v42, v42, v176
	v_fma_f16 v34, v36, s9, v34
	v_fma_f16 v172, v171, 0.5, v172
	v_mul_f16_e32 v176, -0.5, v169
	v_mul_f16_e32 v171, 0xbaee, v171
	v_fma_f16 v176, v34, s9, v176
	v_fma_f16 v40, v40, 0.5, v171
	v_mul_f16_e32 v34, -0.5, v34
	v_add_f16_e32 v171, v88, v40
	v_fma_f16 v34, v169, s8, v34
	v_sub_f16_e32 v40, v88, v40
	v_add_f16_e32 v88, v80, v92
	v_lshrrev_b32_e32 v89, 16, v27
	v_add_f16_e32 v166, v166, v175
	v_add_f16_e32 v169, v38, v34
	v_sub_f16_e32 v34, v38, v34
	v_add_f16_e32 v38, v27, v80
	v_fma_f16 v27, v88, -0.5, v27
	v_sub_f16_e32 v88, v39, v43
	v_add_f16_e32 v36, v166, v42
	v_add_f16_e32 v175, v168, v172
	v_sub_f16_e32 v42, v166, v42
	v_sub_f16_e32 v166, v168, v172
	v_fma_f16 v168, v88, s9, v27
	v_fma_f16 v27, v88, s8, v27
	v_add_f16_e32 v88, v89, v39
	v_add_f16_e32 v39, v39, v43
	v_fma_f16 v39, v39, -0.5, v89
	v_add_f16_e32 v89, v91, v86
	v_add_f16_e32 v38, v38, v92
	;; [unrolled: 1-line block ×3, first 2 shown]
	v_sub_f16_e32 v43, v80, v92
	v_fma_f16 v89, v89, -0.5, v182
	v_sub_f16_e32 v92, v41, v35
	v_add_f16_e32 v186, v167, v170
	v_sub_f16_e32 v167, v167, v170
	v_fma_f16 v170, v92, s9, v89
	v_fma_f16 v89, v92, s8, v89
	v_add_f16_e32 v92, v37, v41
	v_add_f16_e32 v92, v92, v35
	;; [unrolled: 1-line block ×3, first 2 shown]
	v_fma_f16 v35, v35, -0.5, v37
	v_sub_f16_e32 v37, v91, v86
	v_fma_f16 v80, v43, s8, v39
	v_fma_f16 v39, v43, s9, v39
	v_add_f16_e32 v43, v182, v91
	v_fma_f16 v41, v37, s8, v35
	v_add_f16_e32 v43, v43, v86
	v_mul_f16_e32 v86, 0x3aee, v41
	v_fma_f16 v35, v37, s9, v35
	v_fma_f16 v86, v170, 0.5, v86
	v_mul_f16_e32 v172, -0.5, v89
	v_mul_f16_e32 v170, 0xbaee, v170
	v_fma_f16 v172, v35, s9, v172
	v_fma_f16 v41, v41, 0.5, v170
	v_mul_f16_e32 v35, -0.5, v35
	v_add_f16_e32 v170, v80, v41
	v_fma_f16 v35, v89, s8, v35
	v_sub_f16_e32 v41, v80, v41
	v_add_f16_e32 v80, v93, v95
	v_lshrrev_b32_e32 v96, 16, v30
	v_add_f16_e32 v89, v39, v35
	v_sub_f16_e32 v35, v39, v35
	v_add_f16_e32 v39, v30, v93
	v_fma_f16 v30, v80, -0.5, v30
	v_sub_f16_e32 v80, v50, v52
	v_add_f16_e32 v37, v38, v43
	v_add_f16_e32 v91, v168, v86
	;; [unrolled: 1-line block ×3, first 2 shown]
	v_sub_f16_e32 v38, v38, v43
	v_sub_f16_e32 v43, v168, v86
	;; [unrolled: 1-line block ×3, first 2 shown]
	v_fma_f16 v88, v80, s9, v30
	v_fma_f16 v30, v80, s8, v30
	v_add_f16_e32 v80, v96, v50
	v_add_f16_e32 v50, v50, v52
	;; [unrolled: 1-line block ×3, first 2 shown]
	v_fma_f16 v50, v50, -0.5, v96
	v_sub_f16_e32 v52, v93, v95
	v_add_f16_e32 v93, v94, v97
	v_fma_f16 v92, v52, s8, v50
	v_fma_f16 v50, v52, s9, v50
	v_add_f16_e32 v52, v87, v94
	v_fma_f16 v87, v93, -0.5, v87
	v_sub_f16_e32 v93, v44, v46
	v_add_f16_e32 v39, v39, v95
	v_fma_f16 v95, v93, s9, v87
	v_fma_f16 v87, v93, s8, v87
	v_add_f16_e32 v93, v54, v44
	v_add_f16_e32 v44, v44, v46
	;; [unrolled: 1-line block ×3, first 2 shown]
	v_fma_f16 v44, v44, -0.5, v54
	v_sub_f16_e32 v46, v94, v97
	v_fma_f16 v54, v46, s8, v44
	v_add_f16_e32 v52, v52, v97
	v_fma_f16 v44, v46, s9, v44
	v_mul_f16_e32 v94, 0x3aee, v54
	v_mul_f16_e32 v97, -0.5, v87
	v_fma_f16 v94, v95, 0.5, v94
	v_fma_f16 v97, v44, s9, v97
	v_mul_f16_e32 v44, -0.5, v44
	v_add_f16_e32 v46, v39, v52
	v_add_f16_e32 v96, v88, v94
	v_mul_f16_e32 v95, 0xbaee, v95
	v_fma_f16 v44, v87, s8, v44
	v_sub_f16_e32 v39, v39, v52
	v_sub_f16_e32 v52, v88, v94
	v_add_f16_e32 v88, v99, v101
	v_lshrrev_b32_e32 v102, 16, v31
	v_fma_f16 v54, v54, 0.5, v95
	v_add_f16_e32 v87, v50, v44
	v_sub_f16_e32 v44, v50, v44
	v_add_f16_e32 v50, v31, v99
	v_fma_f16 v31, v88, -0.5, v31
	v_sub_f16_e32 v88, v51, v53
	v_add_f16_e32 v95, v92, v54
	v_sub_f16_e32 v54, v92, v54
	v_fma_f16 v92, v88, s9, v31
	v_fma_f16 v31, v88, s8, v31
	v_add_f16_e32 v88, v102, v51
	v_add_f16_e32 v51, v51, v53
	;; [unrolled: 1-line block ×4, first 2 shown]
	v_sub_f16_e32 v30, v30, v97
	v_add_f16_e32 v88, v88, v53
	v_fma_f16 v51, v51, -0.5, v102
	v_sub_f16_e32 v53, v99, v101
	v_fma_f16 v94, v94, -0.5, v98
	v_sub_f16_e32 v97, v45, v47
	v_add_f16_e32 v185, v26, v176
	v_sub_f16_e32 v26, v26, v176
	v_add_f16_e32 v176, v27, v172
	;; [unrolled: 2-line block ×3, first 2 shown]
	v_sub_f16_e32 v80, v80, v93
	v_fma_f16 v93, v53, s8, v51
	v_fma_f16 v51, v53, s9, v51
	v_add_f16_e32 v53, v98, v100
	v_fma_f16 v98, v97, s9, v94
	v_fma_f16 v94, v97, s8, v94
	v_add_f16_e32 v97, v55, v45
	v_add_f16_e32 v45, v45, v47
	;; [unrolled: 1-line block ×3, first 2 shown]
	v_fma_f16 v45, v45, -0.5, v55
	v_sub_f16_e32 v47, v100, v103
	v_fma_f16 v55, v47, s8, v45
	v_add_f16_e32 v50, v50, v101
	v_fma_f16 v45, v47, s9, v45
	v_mul_f16_e32 v99, 0x3aee, v55
	v_mul_f16_e32 v101, -0.5, v94
	v_add_f16_e32 v53, v53, v103
	v_fma_f16 v99, v98, 0.5, v99
	v_fma_f16 v101, v45, s9, v101
	v_mul_f16_e32 v45, -0.5, v45
	v_add_f16_e32 v47, v50, v53
	v_add_f16_e32 v100, v92, v99
	v_mul_f16_e32 v98, 0xbaee, v98
	v_fma_f16 v45, v94, s8, v45
	v_sub_f16_e32 v50, v50, v53
	v_sub_f16_e32 v53, v92, v99
	v_add_f16_e32 v92, v112, v114
	v_lshrrev_b32_e32 v115, 16, v24
	v_fma_f16 v55, v55, 0.5, v98
	v_add_f16_e32 v94, v51, v45
	v_sub_f16_e32 v45, v51, v45
	v_add_f16_e32 v51, v24, v112
	v_fma_f16 v24, v92, -0.5, v24
	v_sub_f16_e32 v92, v64, v58
	v_add_f16_e32 v98, v93, v55
	v_sub_f16_e32 v55, v93, v55
	v_fma_f16 v93, v92, s9, v24
	v_fma_f16 v24, v92, s8, v24
	v_add_f16_e32 v92, v115, v64
	v_add_f16_e32 v92, v92, v58
	;; [unrolled: 1-line block ×5, first 2 shown]
	v_sub_f16_e32 v31, v31, v101
	v_fma_f16 v58, v58, -0.5, v115
	v_sub_f16_e32 v64, v112, v114
	v_fma_f16 v99, v99, -0.5, v111
	v_sub_f16_e32 v101, v60, v56
	v_add_f16_e32 v103, v88, v97
	v_sub_f16_e32 v88, v88, v97
	v_fma_f16 v97, v64, s8, v58
	v_fma_f16 v58, v64, s9, v58
	v_add_f16_e32 v64, v111, v113
	v_fma_f16 v111, v101, s9, v99
	v_fma_f16 v99, v101, s8, v99
	v_add_f16_e32 v101, v62, v60
	v_add_f16_e32 v101, v101, v56
	;; [unrolled: 1-line block ×3, first 2 shown]
	v_fma_f16 v56, v56, -0.5, v62
	v_sub_f16_e32 v60, v113, v159
	v_fma_f16 v62, v60, s8, v56
	v_mul_f16_e32 v112, 0x3aee, v62
	v_add_f16_e32 v51, v51, v114
	v_add_f16_e32 v64, v64, v159
	v_fma_f16 v56, v60, s9, v56
	v_fma_f16 v112, v111, 0.5, v112
	v_mul_f16_e32 v114, -0.5, v99
	v_add_f16_e32 v60, v51, v64
	v_add_f16_e32 v113, v93, v112
	v_fma_f16 v114, v56, s9, v114
	v_mul_f16_e32 v56, -0.5, v56
	v_sub_f16_e32 v51, v51, v64
	v_sub_f16_e32 v64, v93, v112
	v_add_f16_e32 v112, v162, v165
	v_add_f16_e32 v115, v24, v114
	v_mul_f16_e32 v111, 0xbaee, v111
	v_fma_f16 v56, v99, s8, v56
	v_sub_f16_e32 v24, v24, v114
	v_add_f16_e32 v93, v161, v163
	v_fma_f16 v112, v112, -0.5, v160
	v_sub_f16_e32 v114, v61, v57
	v_lshrrev_b32_e32 v164, 16, v25
	v_fma_f16 v62, v62, 0.5, v111
	v_add_f16_e32 v99, v58, v56
	v_sub_f16_e32 v56, v58, v56
	v_add_f16_e32 v58, v25, v161
	v_fma_f16 v25, v93, -0.5, v25
	v_sub_f16_e32 v93, v65, v59
	v_fma_f16 v159, v114, s9, v112
	v_fma_f16 v112, v114, s8, v112
	v_add_f16_e32 v114, v63, v61
	v_add_f16_e32 v111, v97, v62
	v_sub_f16_e32 v62, v97, v62
	v_fma_f16 v97, v93, s9, v25
	v_fma_f16 v25, v93, s8, v25
	v_add_f16_e32 v93, v164, v65
	v_add_f16_e32 v114, v114, v57
	;; [unrolled: 1-line block ×5, first 2 shown]
	v_fma_f16 v57, v57, -0.5, v63
	v_sub_f16_e32 v61, v162, v165
	v_fma_f16 v59, v59, -0.5, v164
	v_sub_f16_e32 v65, v161, v163
	v_fma_f16 v63, v61, s8, v57
	v_add_f16_e32 v187, v92, v101
	v_sub_f16_e32 v92, v92, v101
	v_fma_f16 v101, v65, s8, v59
	v_fma_f16 v59, v65, s9, v59
	v_add_f16_e32 v65, v160, v162
	v_mul_f16_e32 v160, 0x3aee, v63
	v_fma_f16 v160, v159, 0.5, v160
	v_mul_f16_e32 v159, 0xbaee, v159
	v_mul_u32_u24_e32 v29, 60, v29
	v_fma_f16 v63, v63, 0.5, v159
	v_add_lshl_u32 v159, v29, v33, 2
	v_pack_b32_f16 v29, v36, v186
	v_pack_b32_f16 v33, v175, v171
	s_waitcnt lgkmcnt(0)
	; wave barrier
	ds_write2_b32 v159, v29, v33 offset1:10
	v_pack_b32_f16 v29, v185, v169
	v_pack_b32_f16 v33, v42, v167
	ds_write2_b32 v159, v29, v33 offset0:20 offset1:30
	v_pack_b32_f16 v29, v166, v40
	v_pack_b32_f16 v26, v26, v34
	v_add_f16_e32 v58, v58, v163
	v_add_f16_e32 v65, v65, v165
	ds_write2_b32 v159, v29, v26 offset0:40 offset1:50
	v_mul_u32_u24_e32 v26, 60, v66
	v_fma_f16 v57, v61, s9, v57
	v_add_f16_e32 v61, v58, v65
	v_add_f16_e32 v165, v97, v160
	v_sub_f16_e32 v58, v58, v65
	v_sub_f16_e32 v65, v97, v160
	v_add_lshl_u32 v160, v26, v67, 2
	v_pack_b32_f16 v26, v37, v182
	v_pack_b32_f16 v29, v91, v170
	ds_write2_b32 v160, v26, v29 offset1:10
	v_pack_b32_f16 v26, v176, v89
	v_pack_b32_f16 v29, v38, v86
	v_mul_f16_e32 v161, -0.5, v112
	ds_write2_b32 v160, v26, v29 offset0:20 offset1:30
	v_pack_b32_f16 v26, v43, v41
	v_pack_b32_f16 v27, v27, v35
	v_fma_f16 v161, v57, s9, v161
	ds_write2_b32 v160, v26, v27 offset0:40 offset1:50
	v_mul_u32_u24_e32 v26, 60, v82
	v_add_f16_e32 v188, v25, v161
	v_sub_f16_e32 v25, v25, v161
	v_add_lshl_u32 v161, v26, v83, 2
	v_pack_b32_f16 v26, v46, v172
	v_pack_b32_f16 v27, v96, v95
	ds_write2_b32 v161, v26, v27 offset1:10
	v_pack_b32_f16 v26, v168, v87
	v_pack_b32_f16 v27, v39, v80
	ds_write2_b32 v161, v26, v27 offset0:20 offset1:30
	v_pack_b32_f16 v26, v52, v54
	v_pack_b32_f16 v27, v30, v44
	ds_write2_b32 v161, v26, v27 offset0:40 offset1:50
	v_mul_u32_u24_e32 v26, 60, v84
	v_add_lshl_u32 v162, v26, v85, 2
	v_pack_b32_f16 v26, v47, v103
	v_pack_b32_f16 v27, v100, v98
	ds_write2_b32 v162, v26, v27 offset1:10
	v_pack_b32_f16 v26, v102, v94
	v_pack_b32_f16 v27, v50, v88
	ds_write2_b32 v162, v26, v27 offset0:20 offset1:30
	v_pack_b32_f16 v26, v53, v55
	v_pack_b32_f16 v27, v31, v45
	ds_write2_b32 v162, v26, v27 offset0:40 offset1:50
	v_mad_legacy_u16 v26, v173, 60, v174
	v_lshlrev_b32_e32 v163, 2, v26
	v_pack_b32_f16 v26, v60, v187
	v_pack_b32_f16 v27, v113, v111
	ds_write2_b32 v163, v26, v27 offset1:10
	v_pack_b32_f16 v26, v115, v99
	v_pack_b32_f16 v27, v51, v92
	v_mul_f16_e32 v57, -0.5, v57
	ds_write2_b32 v163, v26, v27 offset0:20 offset1:30
	v_pack_b32_f16 v26, v64, v62
	v_pack_b32_f16 v24, v24, v56
	v_add_f16_e32 v189, v93, v114
	v_add_f16_e32 v190, v101, v63
	v_fma_f16 v57, v112, s8, v57
	ds_write2_b32 v163, v26, v24 offset0:40 offset1:50
	v_mad_legacy_u16 v24, v183, 60, v184
	v_add_f16_e32 v112, v59, v57
	v_sub_f16_e32 v93, v93, v114
	v_lshlrev_b32_e32 v164, 2, v24
	v_pack_b32_f16 v24, v61, v189
	v_pack_b32_f16 v26, v165, v190
	v_sub_f16_e32 v63, v101, v63
	v_sub_f16_e32 v57, v59, v57
	ds_write2_b32 v164, v24, v26 offset1:10
	v_pack_b32_f16 v24, v188, v112
	v_pack_b32_f16 v26, v58, v93
	ds_write2_b32 v164, v24, v26 offset0:20 offset1:30
	v_pack_b32_f16 v24, v65, v63
	v_pack_b32_f16 v25, v25, v57
	v_mad_u64_u32 v[50:51], s[14:15], v72, 20, s[0:1]
	ds_write2_b32 v164, v24, v25 offset0:40 offset1:50
	s_waitcnt lgkmcnt(0)
	; wave barrier
	s_waitcnt lgkmcnt(0)
	global_load_dwordx4 v[24:27], v[50:51], off offset:200
	ds_read2_b32 v[52:53], v68 offset1:60
	ds_read2_b32 v[40:41], v105 offset0:104 offset1:164
	ds_read2_b32 v[98:99], v177 offset0:80 offset1:140
	;; [unrolled: 1-line block ×11, first 2 shown]
	global_load_dword v165, v[50:51], off offset:216
	s_movk_i32 s16, 0x89
	v_mul_lo_u16_sdwa v29, v28, s16 dst_sel:DWORD dst_unused:UNUSED_PAD src0_sel:BYTE_0 src1_sel:DWORD
	v_lshrrev_b16_e32 v29, 13, v29
	v_mul_lo_u16_e32 v29, 60, v29
	v_sub_u16_e32 v28, v28, v29
	v_and_b32_e32 v91, 0xff, v28
	v_mul_lo_u16_sdwa v33, v32, s16 dst_sel:DWORD dst_unused:UNUSED_PAD src0_sel:BYTE_0 src1_sel:DWORD
	s_waitcnt lgkmcnt(10)
	v_lshrrev_b32_e32 v42, 16, v40
	v_mad_u64_u32 v[36:37], s[14:15], v91, 20, s[0:1]
	v_lshrrev_b16_e32 v33, 13, v33
	ds_read2_b32 v[44:45], v110 offset0:112 offset1:172
	ds_read2_b32 v[66:67], v108 offset0:88 offset1:148
	;; [unrolled: 1-line block ×5, first 2 shown]
	global_load_dwordx4 v[28:31], v[36:37], off offset:200
	global_load_dword v166, v[36:37], off offset:216
	v_mul_lo_u16_e32 v33, 60, v33
	s_waitcnt lgkmcnt(14)
	v_lshrrev_b32_e32 v43, 16, v98
	v_sub_u16_e32 v32, v32, v33
	v_and_b32_e32 v92, 0xff, v32
	s_waitcnt lgkmcnt(13)
	v_lshrrev_b32_e32 v111, 16, v100
	v_mad_u64_u32 v[38:39], s[14:15], v92, 20, s[0:1]
	s_mov_b32 s14, 0x8889
	s_waitcnt lgkmcnt(12)
	v_lshrrev_b32_e32 v114, 16, v102
	v_lshrrev_b32_e32 v115, 16, v41
	global_load_dwordx4 v[32:35], v[38:39], off offset:200
	global_load_dword v167, v[38:39], off offset:216
	s_waitcnt lgkmcnt(11)
	v_lshrrev_b32_e32 v169, 16, v88
	v_lshrrev_b32_e32 v171, 16, v99
	;; [unrolled: 1-line block ×3, first 2 shown]
	s_waitcnt lgkmcnt(8)
	v_lshrrev_b32_e32 v176, 16, v82
	v_lshrrev_b32_e32 v175, 16, v86
	;; [unrolled: 1-line block ×4, first 2 shown]
	s_waitcnt lgkmcnt(5)
	v_lshrrev_b32_e32 v184, 16, v60
	ds_read2_b32 v[84:85], v181 offset0:120 offset1:180
	v_lshrrev_b32_e32 v186, 16, v83
	v_lshrrev_b32_e32 v182, 16, v64
	;; [unrolled: 1-line block ×4, first 2 shown]
	s_waitcnt lgkmcnt(3)
	v_lshrrev_b32_e32 v191, 16, v58
	v_lshrrev_b32_e32 v187, 16, v65
	;; [unrolled: 1-line block ×5, first 2 shown]
	s_waitcnt lgkmcnt(0)
	v_lshrrev_b32_e32 v194, 16, v84
	v_lshrrev_b32_e32 v192, 16, v56
	;; [unrolled: 1-line block ×14, first 2 shown]
	s_waitcnt vmcnt(5)
	v_mul_f16_sdwa v36, v42, v24 dst_sel:DWORD dst_unused:UNUSED_PAD src0_sel:DWORD src1_sel:WORD_1
	v_fma_f16 v200, v40, v24, -v36
	v_mul_f16_sdwa v36, v40, v24 dst_sel:DWORD dst_unused:UNUSED_PAD src0_sel:DWORD src1_sel:WORD_1
	v_fma_f16 v201, v42, v24, v36
	v_mul_f16_sdwa v36, v43, v25 dst_sel:DWORD dst_unused:UNUSED_PAD src0_sel:DWORD src1_sel:WORD_1
	v_fma_f16 v202, v98, v25, -v36
	v_mul_f16_sdwa v36, v98, v25 dst_sel:DWORD dst_unused:UNUSED_PAD src0_sel:DWORD src1_sel:WORD_1
	v_fma_f16 v98, v43, v25, v36
	v_mul_f16_sdwa v36, v111, v26 dst_sel:DWORD dst_unused:UNUSED_PAD src0_sel:DWORD src1_sel:WORD_1
	v_mul_f16_sdwa v40, v100, v26 dst_sel:DWORD dst_unused:UNUSED_PAD src0_sel:DWORD src1_sel:WORD_1
	v_fma_f16 v203, v100, v26, -v36
	v_mul_u32_u24_sdwa v36, v90, s14 dst_sel:DWORD dst_unused:UNUSED_PAD src0_sel:WORD_0 src1_sel:DWORD
	v_fma_f16 v100, v111, v26, v40
	v_mul_f16_sdwa v40, v102, v27 dst_sel:DWORD dst_unused:UNUSED_PAD src0_sel:DWORD src1_sel:WORD_1
	v_lshrrev_b32_e32 v36, 21, v36
	v_fma_f16 v204, v114, v27, v40
	v_mul_f16_sdwa v40, v115, v24 dst_sel:DWORD dst_unused:UNUSED_PAD src0_sel:DWORD src1_sel:WORD_1
	v_mul_lo_u16_e32 v36, 60, v36
	v_fma_f16 v205, v41, v24, -v40
	v_mul_f16_sdwa v40, v41, v24 dst_sel:DWORD dst_unused:UNUSED_PAD src0_sel:DWORD src1_sel:WORD_1
	v_sub_u16_e32 v90, v90, v36
	v_fma_f16 v206, v115, v24, v40
	v_mul_u32_u24_sdwa v40, v49, s14 dst_sel:DWORD dst_unused:UNUSED_PAD src0_sel:WORD_0 src1_sel:DWORD
	v_mul_lo_u16_e32 v80, 20, v90
	v_lshrrev_b32_e32 v40, 21, v40
	v_lshl_add_u64 v[112:113], s[0:1], 0, v[80:81]
	global_load_dword v168, v[112:113], off offset:216
	v_mul_lo_u16_e32 v40, 60, v40
	global_load_dwordx4 v[36:39], v[112:113], off offset:200
	v_sub_u16_e32 v49, v49, v40
	v_mul_lo_u16_e32 v80, 20, v49
	v_mul_f16_sdwa v111, v114, v27 dst_sel:DWORD dst_unused:UNUSED_PAD src0_sel:DWORD src1_sel:WORD_1
	v_lshl_add_u64 v[114:115], s[0:1], 0, v[80:81]
	global_load_dwordx4 v[40:43], v[114:115], off offset:200
	v_fma_f16 v80, v102, v27, -v111
	s_waitcnt vmcnt(7)
	v_mul_f16_sdwa v111, v88, v165 dst_sel:DWORD dst_unused:UNUSED_PAD src0_sel:DWORD src1_sel:WORD_1
	v_fma_f16 v111, v169, v165, v111
	v_mul_f16_sdwa v112, v169, v165 dst_sel:DWORD dst_unused:UNUSED_PAD src0_sel:DWORD src1_sel:WORD_1
	global_load_dword v169, v[114:115], off offset:216
	v_mul_f16_sdwa v102, v171, v25 dst_sel:DWORD dst_unused:UNUSED_PAD src0_sel:DWORD src1_sel:WORD_1
	v_fma_f16 v102, v99, v25, -v102
	v_mul_f16_sdwa v99, v99, v25 dst_sel:DWORD dst_unused:UNUSED_PAD src0_sel:DWORD src1_sel:WORD_1
	v_fma_f16 v99, v171, v25, v99
	v_mul_f16_sdwa v171, v174, v165 dst_sel:DWORD dst_unused:UNUSED_PAD src0_sel:DWORD src1_sel:WORD_1
	v_fma_f16 v114, v89, v165, -v171
	s_waitcnt vmcnt(7)
	v_mul_f16_sdwa v171, v176, v29 dst_sel:DWORD dst_unused:UNUSED_PAD src0_sel:DWORD src1_sel:WORD_1
	v_mul_f16_sdwa v115, v175, v28 dst_sel:DWORD dst_unused:UNUSED_PAD src0_sel:DWORD src1_sel:WORD_1
	v_fma_f16 v171, v82, v29, -v171
	v_mul_f16_sdwa v82, v82, v29 dst_sel:DWORD dst_unused:UNUSED_PAD src0_sel:DWORD src1_sel:WORD_1
	v_fma_f16 v88, v88, v165, -v112
	v_mul_f16_sdwa v112, v172, v26 dst_sel:DWORD dst_unused:UNUSED_PAD src0_sel:DWORD src1_sel:WORD_1
	v_mul_f16_sdwa v113, v173, v27 dst_sel:DWORD dst_unused:UNUSED_PAD src0_sel:DWORD src1_sel:WORD_1
	v_fma_f16 v115, v86, v28, -v115
	v_mul_f16_sdwa v86, v86, v28 dst_sel:DWORD dst_unused:UNUSED_PAD src0_sel:DWORD src1_sel:WORD_1
	v_fma_f16 v82, v176, v29, v82
	s_waitcnt vmcnt(6)
	v_mul_f16_sdwa v176, v184, v166 dst_sel:DWORD dst_unused:UNUSED_PAD src0_sel:DWORD src1_sel:WORD_1
	v_fma_f16 v112, v101, v26, -v112
	v_mul_f16_sdwa v101, v101, v26 dst_sel:DWORD dst_unused:UNUSED_PAD src0_sel:DWORD src1_sel:WORD_1
	v_fma_f16 v113, v103, v27, -v113
	v_mul_f16_sdwa v103, v103, v27 dst_sel:DWORD dst_unused:UNUSED_PAD src0_sel:DWORD src1_sel:WORD_1
	v_mul_f16_sdwa v89, v89, v165 dst_sel:DWORD dst_unused:UNUSED_PAD src0_sel:DWORD src1_sel:WORD_1
	v_fma_f16 v86, v175, v28, v86
	v_mul_f16_sdwa v175, v60, v166 dst_sel:DWORD dst_unused:UNUSED_PAD src0_sel:DWORD src1_sel:WORD_1
	v_fma_f16 v60, v60, v166, -v176
	s_waitcnt vmcnt(5)
	v_mul_f16_sdwa v176, v186, v33 dst_sel:DWORD dst_unused:UNUSED_PAD src0_sel:DWORD src1_sel:WORD_1
	v_fma_f16 v101, v172, v26, v101
	v_fma_f16 v103, v173, v27, v103
	;; [unrolled: 1-line block ×3, first 2 shown]
	v_mul_f16_sdwa v172, v182, v30 dst_sel:DWORD dst_unused:UNUSED_PAD src0_sel:DWORD src1_sel:WORD_1
	v_mul_f16_sdwa v173, v183, v31 dst_sel:DWORD dst_unused:UNUSED_PAD src0_sel:DWORD src1_sel:WORD_1
	;; [unrolled: 1-line block ×3, first 2 shown]
	v_fma_f16 v176, v83, v33, -v176
	v_mul_f16_sdwa v83, v83, v33 dst_sel:DWORD dst_unused:UNUSED_PAD src0_sel:DWORD src1_sel:WORD_1
	v_fma_f16 v172, v64, v30, -v172
	v_mul_f16_sdwa v64, v64, v30 dst_sel:DWORD dst_unused:UNUSED_PAD src0_sel:DWORD src1_sel:WORD_1
	;; [unrolled: 2-line block ×4, first 2 shown]
	v_fma_f16 v83, v186, v33, v83
	v_fma_f16 v64, v182, v30, v64
	;; [unrolled: 1-line block ×4, first 2 shown]
	v_mul_f16_sdwa v182, v187, v34 dst_sel:DWORD dst_unused:UNUSED_PAD src0_sel:DWORD src1_sel:WORD_1
	v_mul_f16_sdwa v183, v188, v35 dst_sel:DWORD dst_unused:UNUSED_PAD src0_sel:DWORD src1_sel:WORD_1
	v_fma_f16 v175, v184, v166, v175
	v_fma_f16 v182, v65, v34, -v182
	v_mul_f16_sdwa v65, v65, v34 dst_sel:DWORD dst_unused:UNUSED_PAD src0_sel:DWORD src1_sel:WORD_1
	v_fma_f16 v183, v63, v35, -v183
	v_mul_f16_sdwa v63, v63, v35 dst_sel:DWORD dst_unused:UNUSED_PAD src0_sel:DWORD src1_sel:WORD_1
	s_waitcnt vmcnt(4)
	v_mul_f16_sdwa v184, v189, v167 dst_sel:DWORD dst_unused:UNUSED_PAD src0_sel:DWORD src1_sel:WORD_1
	v_fma_f16 v65, v187, v34, v65
	v_fma_f16 v63, v188, v35, v63
	v_fma_f16 v184, v61, v167, -v184
	v_mul_f16_sdwa v61, v61, v167 dst_sel:DWORD dst_unused:UNUSED_PAD src0_sel:DWORD src1_sel:WORD_1
	v_fma_f16 v61, v189, v167, v61
	s_waitcnt lgkmcnt(0)
	; wave barrier
	s_waitcnt vmcnt(2)
	v_mul_f16_sdwa v186, v191, v37 dst_sel:DWORD dst_unused:UNUSED_PAD src0_sel:DWORD src1_sel:WORD_1
	v_mul_f16_sdwa v185, v190, v36 dst_sel:DWORD dst_unused:UNUSED_PAD src0_sel:DWORD src1_sel:WORD_1
	v_fma_f16 v186, v58, v37, -v186
	v_mul_f16_sdwa v58, v58, v37 dst_sel:DWORD dst_unused:UNUSED_PAD src0_sel:DWORD src1_sel:WORD_1
	v_fma_f16 v185, v66, v36, -v185
	v_mul_f16_sdwa v66, v66, v36 dst_sel:DWORD dst_unused:UNUSED_PAD src0_sel:DWORD src1_sel:WORD_1
	v_fma_f16 v58, v191, v37, v58
	v_mul_f16_sdwa v191, v194, v168 dst_sel:DWORD dst_unused:UNUSED_PAD src0_sel:DWORD src1_sel:WORD_1
	v_fma_f16 v66, v190, v36, v66
	v_mul_f16_sdwa v187, v192, v38 dst_sel:DWORD dst_unused:UNUSED_PAD src0_sel:DWORD src1_sel:WORD_1
	v_mul_f16_sdwa v188, v193, v39 dst_sel:DWORD dst_unused:UNUSED_PAD src0_sel:DWORD src1_sel:WORD_1
	v_mul_f16_sdwa v190, v84, v168 dst_sel:DWORD dst_unused:UNUSED_PAD src0_sel:DWORD src1_sel:WORD_1
	v_fma_f16 v84, v84, v168, -v191
	s_waitcnt vmcnt(1)
	v_mul_f16_sdwa v191, v196, v41 dst_sel:DWORD dst_unused:UNUSED_PAD src0_sel:DWORD src1_sel:WORD_1
	v_fma_f16 v187, v56, v38, -v187
	v_mul_f16_sdwa v56, v56, v38 dst_sel:DWORD dst_unused:UNUSED_PAD src0_sel:DWORD src1_sel:WORD_1
	v_fma_f16 v188, v54, v39, -v188
	v_mul_f16_sdwa v54, v54, v39 dst_sel:DWORD dst_unused:UNUSED_PAD src0_sel:DWORD src1_sel:WORD_1
	v_mul_f16_sdwa v189, v195, v40 dst_sel:DWORD dst_unused:UNUSED_PAD src0_sel:DWORD src1_sel:WORD_1
	v_fma_f16 v191, v59, v41, -v191
	v_mul_f16_sdwa v59, v59, v41 dst_sel:DWORD dst_unused:UNUSED_PAD src0_sel:DWORD src1_sel:WORD_1
	v_fma_f16 v56, v192, v38, v56
	v_fma_f16 v54, v193, v39, v54
	v_fma_f16 v189, v67, v40, -v189
	v_mul_f16_sdwa v67, v67, v40 dst_sel:DWORD dst_unused:UNUSED_PAD src0_sel:DWORD src1_sel:WORD_1
	v_fma_f16 v59, v196, v41, v59
	v_mul_f16_sdwa v192, v197, v42 dst_sel:DWORD dst_unused:UNUSED_PAD src0_sel:DWORD src1_sel:WORD_1
	v_mul_f16_sdwa v193, v198, v43 dst_sel:DWORD dst_unused:UNUSED_PAD src0_sel:DWORD src1_sel:WORD_1
	v_add_f16_e32 v196, v202, v80
	v_fma_f16 v190, v194, v168, v190
	v_fma_f16 v67, v195, v40, v67
	v_fma_f16 v192, v57, v42, -v192
	v_mul_f16_sdwa v57, v57, v42 dst_sel:DWORD dst_unused:UNUSED_PAD src0_sel:DWORD src1_sel:WORD_1
	v_fma_f16 v193, v55, v43, -v193
	v_mul_f16_sdwa v55, v55, v43 dst_sel:DWORD dst_unused:UNUSED_PAD src0_sel:DWORD src1_sel:WORD_1
	s_waitcnt vmcnt(0)
	v_mul_f16_sdwa v194, v199, v169 dst_sel:DWORD dst_unused:UNUSED_PAD src0_sel:DWORD src1_sel:WORD_1
	v_add_f16_e32 v195, v52, v202
	v_fma_f16 v52, v196, -0.5, v52
	v_sub_f16_e32 v196, v98, v204
	v_fma_f16 v57, v197, v42, v57
	v_fma_f16 v55, v198, v43, v55
	v_fma_f16 v194, v85, v169, -v194
	v_mul_f16_sdwa v85, v85, v169 dst_sel:DWORD dst_unused:UNUSED_PAD src0_sel:DWORD src1_sel:WORD_1
	v_fma_f16 v197, v196, s9, v52
	v_fma_f16 v52, v196, s8, v52
	v_add_f16_e32 v196, v97, v98
	v_add_f16_e32 v98, v98, v204
	v_add_f16_e32 v198, v203, v88
	v_fma_f16 v85, v199, v169, v85
	v_add_f16_e32 v195, v195, v80
	v_fma_f16 v97, v98, -0.5, v97
	v_sub_f16_e32 v80, v202, v80
	v_fma_f16 v198, v198, -0.5, v200
	v_sub_f16_e32 v199, v100, v111
	v_fma_f16 v98, v80, s8, v97
	v_fma_f16 v80, v80, s9, v97
	v_add_f16_e32 v97, v200, v203
	v_fma_f16 v200, v199, s9, v198
	v_fma_f16 v198, v199, s8, v198
	v_add_f16_e32 v199, v201, v100
	v_add_f16_e32 v100, v100, v111
	;; [unrolled: 1-line block ×3, first 2 shown]
	v_fma_f16 v100, v100, -0.5, v201
	v_sub_f16_e32 v88, v203, v88
	v_add_f16_e32 v199, v199, v111
	v_fma_f16 v111, v88, s8, v100
	v_mul_f16_e32 v201, 0x3aee, v111
	v_fma_f16 v88, v88, s9, v100
	v_fma_f16 v201, v200, 0.5, v201
	v_mul_f16_e32 v203, -0.5, v198
	v_mul_f16_e32 v200, 0xbaee, v200
	v_fma_f16 v203, v88, s9, v203
	v_fma_f16 v111, v111, 0.5, v200
	v_mul_f16_e32 v88, -0.5, v88
	v_add_f16_e32 v100, v195, v97
	v_fma_f16 v88, v198, s8, v88
	v_sub_f16_e32 v97, v195, v97
	v_add_f16_e32 v195, v98, v111
	v_sub_f16_e32 v98, v98, v111
	v_add_f16_e32 v111, v102, v113
	v_add_f16_e32 v196, v196, v204
	;; [unrolled: 1-line block ×3, first 2 shown]
	v_sub_f16_e32 v197, v197, v201
	v_add_f16_e32 v201, v80, v88
	v_sub_f16_e32 v80, v80, v88
	v_add_f16_e32 v88, v53, v102
	v_fma_f16 v53, v111, -0.5, v53
	v_sub_f16_e32 v111, v99, v103
	v_add_f16_e32 v198, v196, v199
	v_sub_f16_e32 v196, v196, v199
	v_add_f16_e32 v88, v88, v113
	v_fma_f16 v199, v111, s9, v53
	v_fma_f16 v53, v111, s8, v53
	v_add_f16_e32 v111, v170, v99
	v_add_f16_e32 v99, v99, v103
	v_sub_f16_e32 v102, v102, v113
	v_add_f16_e32 v113, v112, v114
	v_fma_f16 v99, v99, -0.5, v170
	v_fma_f16 v113, v113, -0.5, v205
	v_sub_f16_e32 v170, v101, v89
	v_add_f16_e32 v200, v52, v203
	v_sub_f16_e32 v52, v52, v203
	v_fma_f16 v203, v170, s9, v113
	v_fma_f16 v113, v170, s8, v113
	v_add_f16_e32 v170, v206, v101
	v_add_f16_e32 v170, v170, v89
	v_add_f16_e32 v89, v101, v89
	v_fma_f16 v89, v89, -0.5, v206
	v_sub_f16_e32 v101, v112, v114
	v_add_f16_e32 v111, v111, v103
	v_fma_f16 v103, v102, s8, v99
	v_fma_f16 v99, v102, s9, v99
	v_add_f16_e32 v102, v205, v112
	v_fma_f16 v112, v101, s8, v89
	v_add_f16_e32 v102, v102, v114
	v_mul_f16_e32 v114, 0x3aee, v112
	v_fma_f16 v89, v101, s9, v89
	v_fma_f16 v114, v203, 0.5, v114
	v_mul_f16_e32 v205, -0.5, v113
	v_mul_f16_e32 v203, 0xbaee, v203
	v_fma_f16 v205, v89, s9, v205
	v_fma_f16 v112, v112, 0.5, v203
	v_mul_f16_e32 v89, -0.5, v89
	v_fma_f16 v89, v113, s8, v89
	v_add_f16_e32 v113, v103, v112
	v_sub_f16_e32 v103, v103, v112
	v_add_f16_e32 v112, v171, v173
	v_add_f16_e32 v101, v88, v102
	v_sub_f16_e32 v88, v88, v102
	v_add_f16_e32 v102, v99, v89
	v_sub_f16_e32 v89, v99, v89
	v_add_f16_e32 v99, v46, v171
	v_fma_f16 v46, v112, -0.5, v46
	v_sub_f16_e32 v112, v82, v62
	v_add_f16_e32 v203, v111, v170
	v_sub_f16_e32 v111, v111, v170
	v_fma_f16 v170, v112, s9, v46
	v_fma_f16 v46, v112, s8, v46
	v_add_f16_e32 v112, v96, v82
	v_add_f16_e32 v112, v112, v62
	;; [unrolled: 1-line block ×3, first 2 shown]
	v_fma_f16 v62, v62, -0.5, v96
	v_sub_f16_e32 v82, v171, v173
	v_add_f16_e32 v171, v172, v60
	v_fma_f16 v96, v82, s8, v62
	v_fma_f16 v62, v82, s9, v62
	v_add_f16_e32 v82, v115, v172
	v_fma_f16 v115, v171, -0.5, v115
	v_sub_f16_e32 v171, v64, v175
	v_add_f16_e32 v99, v99, v173
	v_fma_f16 v173, v171, s9, v115
	v_fma_f16 v115, v171, s8, v115
	v_add_f16_e32 v171, v86, v64
	v_add_f16_e32 v64, v64, v175
	;; [unrolled: 1-line block ×3, first 2 shown]
	v_fma_f16 v64, v64, -0.5, v86
	v_sub_f16_e32 v60, v172, v60
	v_fma_f16 v86, v60, s8, v64
	v_mul_f16_e32 v172, 0x3aee, v86
	v_add_f16_e32 v204, v199, v114
	v_sub_f16_e32 v114, v199, v114
	v_fma_f16 v60, v60, s9, v64
	v_fma_f16 v172, v173, 0.5, v172
	v_mul_f16_e32 v199, -0.5, v115
	v_mul_f16_e32 v173, 0xbaee, v173
	v_fma_f16 v199, v60, s9, v199
	v_fma_f16 v86, v86, 0.5, v173
	v_mul_f16_e32 v60, -0.5, v60
	v_add_f16_e32 v64, v99, v82
	v_fma_f16 v60, v115, s8, v60
	v_sub_f16_e32 v82, v99, v82
	v_add_f16_e32 v99, v96, v86
	v_sub_f16_e32 v86, v96, v86
	v_add_f16_e32 v96, v176, v183
	v_add_f16_e32 v171, v171, v175
	;; [unrolled: 1-line block ×3, first 2 shown]
	v_sub_f16_e32 v170, v170, v172
	v_add_f16_e32 v172, v62, v60
	v_sub_f16_e32 v60, v62, v60
	v_add_f16_e32 v62, v47, v176
	v_fma_f16 v47, v96, -0.5, v47
	v_sub_f16_e32 v96, v83, v63
	v_add_f16_e32 v115, v112, v171
	v_sub_f16_e32 v112, v112, v171
	v_fma_f16 v171, v96, s9, v47
	v_fma_f16 v47, v96, s8, v47
	v_add_f16_e32 v96, v95, v83
	v_add_f16_e32 v96, v96, v63
	;; [unrolled: 1-line block ×3, first 2 shown]
	v_fma_f16 v63, v63, -0.5, v95
	v_sub_f16_e32 v83, v176, v183
	v_add_f16_e32 v173, v182, v184
	v_fma_f16 v95, v83, s8, v63
	v_fma_f16 v63, v83, s9, v63
	v_add_f16_e32 v83, v174, v182
	v_fma_f16 v173, v173, -0.5, v174
	v_sub_f16_e32 v174, v65, v61
	v_fma_f16 v176, v174, s9, v173
	v_fma_f16 v173, v174, s8, v173
	v_add_f16_e32 v174, v87, v65
	v_add_f16_e32 v174, v174, v61
	v_add_f16_e32 v61, v65, v61
	v_fma_f16 v61, v61, -0.5, v87
	v_sub_f16_e32 v65, v182, v184
	v_fma_f16 v87, v65, s8, v61
	v_mul_f16_e32 v182, 0x3aee, v87
	v_add_f16_e32 v83, v83, v184
	v_fma_f16 v61, v65, s9, v61
	v_fma_f16 v182, v176, 0.5, v182
	v_mul_f16_e32 v184, -0.5, v173
	v_mul_f16_e32 v176, 0xbaee, v176
	v_fma_f16 v184, v61, s9, v184
	v_fma_f16 v87, v87, 0.5, v176
	v_mul_f16_e32 v61, -0.5, v61
	v_add_f16_e32 v62, v62, v183
	v_fma_f16 v61, v173, s8, v61
	v_add_f16_e32 v207, v95, v87
	v_sub_f16_e32 v87, v95, v87
	v_add_f16_e32 v95, v186, v188
	v_add_f16_e32 v65, v62, v83
	v_sub_f16_e32 v62, v62, v83
	v_add_f16_e32 v83, v63, v61
	v_sub_f16_e32 v61, v63, v61
	v_add_f16_e32 v63, v44, v186
	v_fma_f16 v44, v95, -0.5, v44
	v_sub_f16_e32 v95, v58, v54
	v_add_f16_e32 v176, v96, v174
	v_sub_f16_e32 v96, v96, v174
	v_fma_f16 v173, v95, s9, v44
	v_fma_f16 v44, v95, s8, v44
	v_add_f16_e32 v95, v94, v58
	v_add_f16_e32 v174, v187, v84
	;; [unrolled: 1-line block ×3, first 2 shown]
	v_sub_f16_e32 v171, v171, v182
	v_add_f16_e32 v95, v95, v54
	v_add_f16_e32 v54, v58, v54
	v_fma_f16 v174, v174, -0.5, v185
	v_sub_f16_e32 v182, v56, v190
	v_add_f16_e32 v206, v53, v205
	v_sub_f16_e32 v53, v53, v205
	v_add_f16_e32 v205, v46, v199
	;; [unrolled: 2-line block ×3, first 2 shown]
	v_sub_f16_e32 v47, v47, v184
	v_fma_f16 v54, v54, -0.5, v94
	v_sub_f16_e32 v58, v186, v188
	v_fma_f16 v184, v182, s9, v174
	v_fma_f16 v174, v182, s8, v174
	v_add_f16_e32 v182, v66, v56
	v_add_f16_e32 v56, v56, v190
	v_fma_f16 v94, v58, s8, v54
	v_fma_f16 v54, v58, s9, v54
	v_add_f16_e32 v58, v185, v187
	v_fma_f16 v56, v56, -0.5, v66
	v_sub_f16_e32 v66, v187, v84
	v_add_f16_e32 v58, v58, v84
	v_fma_f16 v84, v66, s8, v56
	v_mul_f16_e32 v185, 0x3aee, v84
	v_fma_f16 v56, v66, s9, v56
	v_fma_f16 v185, v184, 0.5, v185
	v_mul_f16_e32 v187, -0.5, v174
	v_mul_f16_e32 v184, 0xbaee, v184
	v_add_f16_e32 v63, v63, v188
	v_fma_f16 v187, v56, s9, v187
	v_fma_f16 v84, v84, 0.5, v184
	v_mul_f16_e32 v56, -0.5, v56
	v_add_f16_e32 v66, v63, v58
	v_fma_f16 v56, v174, s8, v56
	v_sub_f16_e32 v58, v63, v58
	v_add_f16_e32 v63, v94, v84
	v_sub_f16_e32 v84, v94, v84
	v_add_f16_e32 v94, v191, v193
	v_add_f16_e32 v188, v54, v56
	v_sub_f16_e32 v54, v54, v56
	v_add_f16_e32 v56, v45, v191
	v_fma_f16 v45, v94, -0.5, v45
	v_sub_f16_e32 v94, v59, v55
	v_add_f16_e32 v182, v182, v190
	v_add_f16_e32 v186, v173, v185
	v_sub_f16_e32 v185, v173, v185
	v_fma_f16 v173, v94, s9, v45
	v_fma_f16 v45, v94, s8, v45
	v_add_f16_e32 v94, v93, v59
	v_add_f16_e32 v174, v95, v182
	v_sub_f16_e32 v95, v95, v182
	v_add_f16_e32 v94, v94, v55
	v_add_f16_e32 v55, v59, v55
	;; [unrolled: 1-line block ×4, first 2 shown]
	v_sub_f16_e32 v44, v44, v187
	v_fma_f16 v55, v55, -0.5, v93
	v_sub_f16_e32 v59, v191, v193
	v_fma_f16 v182, v182, -0.5, v189
	v_sub_f16_e32 v187, v57, v85
	v_fma_f16 v93, v59, s8, v55
	v_fma_f16 v55, v59, s9, v55
	v_add_f16_e32 v59, v189, v192
	v_fma_f16 v189, v187, s9, v182
	v_fma_f16 v182, v187, s8, v182
	v_add_f16_e32 v187, v67, v57
	v_add_f16_e32 v57, v57, v85
	v_fma_f16 v57, v57, -0.5, v67
	v_sub_f16_e32 v67, v192, v194
	v_add_f16_e32 v187, v187, v85
	v_fma_f16 v85, v67, s8, v57
	v_fma_f16 v57, v67, s9, v57
	v_mul_f16_e32 v190, 0x3aee, v85
	v_mul_f16_e32 v192, -0.5, v182
	v_fma_f16 v190, v189, 0.5, v190
	v_fma_f16 v192, v57, s9, v192
	v_mul_f16_e32 v189, 0xbaee, v189
	v_mul_f16_e32 v57, -0.5, v57
	v_add_f16_e32 v56, v56, v193
	v_add_f16_e32 v59, v59, v194
	v_fma_f16 v85, v85, 0.5, v189
	v_fma_f16 v57, v182, s8, v57
	v_add_f16_e32 v67, v56, v59
	v_add_f16_e32 v182, v93, v85
	v_sub_f16_e32 v56, v56, v59
	v_add_f16_e32 v59, v55, v57
	v_sub_f16_e32 v85, v93, v85
	v_sub_f16_e32 v55, v55, v57
	v_pack_b32_f16 v57, v100, v198
	v_pack_b32_f16 v93, v202, v195
	ds_write2_b32 v68, v57, v93 offset1:60
	v_pack_b32_f16 v57, v200, v201
	v_pack_b32_f16 v93, v97, v196
	ds_write2_b32 v68, v57, v93 offset0:120 offset1:180
	v_pack_b32_f16 v57, v197, v98
	v_pack_b32_f16 v52, v52, v80
	ds_write2_b32 v110, v57, v52 offset0:112 offset1:172
	;; [unrolled: 3-line block ×3, first 2 shown]
	v_pack_b32_f16 v52, v206, v102
	v_pack_b32_f16 v57, v88, v111
	v_add_f16_e32 v191, v173, v190
	v_sub_f16_e32 v190, v173, v190
	ds_write2_b32 v109, v52, v57 offset0:96 offset1:156
	v_pack_b32_f16 v52, v114, v103
	v_pack_b32_f16 v53, v53, v89
	v_lshlrev_b32_e32 v173, 2, v91
	ds_write2_b32 v108, v52, v53 offset0:88 offset1:148
	v_pack_b32_f16 v52, v64, v115
	v_pack_b32_f16 v53, v175, v99
	v_add_u32_e32 v57, 0xa00, v173
	ds_write2_b32 v57, v52, v53 offset0:80 offset1:140
	v_pack_b32_f16 v52, v205, v172
	v_pack_b32_f16 v53, v82, v112
	v_add_u32_e32 v57, 0xc00, v173
	ds_write2_b32 v57, v52, v53 offset0:72 offset1:132
	v_pack_b32_f16 v52, v170, v86
	v_pack_b32_f16 v46, v46, v60
	v_lshlrev_b32_e32 v172, 2, v92
	ds_write2_b32 v57, v52, v46 offset0:192 offset1:252
	v_pack_b32_f16 v46, v65, v176
	v_pack_b32_f16 v52, v183, v207
	v_add_u32_e32 v53, 0x1000, v172
	ds_write2_b32 v53, v46, v52 offset0:56 offset1:116
	v_pack_b32_f16 v46, v199, v83
	v_pack_b32_f16 v52, v62, v96
	ds_write2_b32 v53, v46, v52 offset0:176 offset1:236
	v_pack_b32_f16 v46, v171, v87
	v_pack_b32_f16 v47, v47, v61
	v_add_u32_e32 v52, 0x1400, v172
	v_lshlrev_b32_e32 v175, 2, v90
	ds_write2_b32 v52, v46, v47 offset0:40 offset1:100
	v_pack_b32_f16 v46, v66, v174
	v_pack_b32_f16 v47, v186, v63
	v_add_u32_e32 v52, 0x1400, v175
	ds_write2_b32 v52, v46, v47 offset0:160 offset1:220
	v_pack_b32_f16 v46, v184, v188
	v_pack_b32_f16 v47, v58, v95
	v_add_u32_e32 v52, 0x1800, v175
	v_add_f16_e32 v189, v94, v187
	ds_write2_b32 v52, v46, v47 offset0:24 offset1:84
	v_pack_b32_f16 v46, v185, v84
	v_pack_b32_f16 v44, v44, v54
	v_lshlrev_b32_e32 v174, 2, v49
	v_add_f16_e32 v193, v45, v192
	v_sub_f16_e32 v94, v94, v187
	ds_write2_b32 v52, v46, v44 offset0:144 offset1:204
	v_pack_b32_f16 v44, v67, v189
	v_pack_b32_f16 v46, v191, v182
	v_add_u32_e32 v47, 0x1c00, v174
	v_sub_f16_e32 v45, v45, v192
	ds_write2_b32 v47, v44, v46 offset0:8 offset1:68
	v_pack_b32_f16 v44, v193, v59
	v_pack_b32_f16 v46, v56, v94
	ds_write2_b32 v47, v44, v46 offset0:128 offset1:188
	v_pack_b32_f16 v44, v190, v85
	v_pack_b32_f16 v45, v45, v55
	v_add_u32_e32 v46, 0x1e00, v174
	ds_write2_b32 v46, v44, v45 offset0:120 offset1:180
	s_waitcnt lgkmcnt(0)
	; wave barrier
	s_waitcnt lgkmcnt(0)
	global_load_dwordx4 v[44:47], v[50:51], off offset:1400
	global_load_dword v170, v[50:51], off offset:1416
	v_mad_u64_u32 v[64:65], s[0:1], v48, 20, s[0:1]
	global_load_dwordx4 v[48:51], v[64:65], off offset:1400
	global_load_dword v171, v[64:65], off offset:1416
	s_mov_b64 s[0:1], 0x960
	v_lshl_add_u64 v[56:57], v[64:65], 0, s[0:1]
	global_load_dwordx4 v[52:55], v[56:57], off offset:3800
	ds_read2_b32 v[66:67], v68 offset1:60
	ds_read2_b32 v[58:59], v105 offset0:104 offset1:164
	ds_read2_b32 v[60:61], v177 offset0:80 offset1:140
	;; [unrolled: 1-line block ×5, first 2 shown]
	global_load_dword v176, v[56:57], off offset:3816
	s_waitcnt lgkmcnt(3)
	v_lshrrev_b32_e32 v56, 16, v60
	s_waitcnt lgkmcnt(2)
	v_lshrrev_b32_e32 v57, 16, v62
	v_lshrrev_b32_e32 v80, 16, v58
	s_waitcnt lgkmcnt(1)
	v_lshrrev_b32_e32 v87, 16, v82
	s_waitcnt lgkmcnt(0)
	v_lshrrev_b32_e32 v111, 16, v84
	v_lshrrev_b32_e32 v113, 16, v59
	;; [unrolled: 1-line block ×6, first 2 shown]
	ds_read2_b32 v[90:91], v68 offset0:120 offset1:180
	ds_read2_b32 v[102:103], v109 offset0:96 offset1:156
	;; [unrolled: 1-line block ×8, first 2 shown]
	s_waitcnt lgkmcnt(4)
	v_lshrrev_b32_e32 v192, 16, v101
	s_waitcnt lgkmcnt(3)
	v_lshrrev_b32_e32 v193, 16, v99
	;; [unrolled: 2-line block ×5, first 2 shown]
	v_lshrrev_b32_e32 v86, 16, v66
	v_lshrrev_b32_e32 v112, 16, v67
	s_mov_b64 s[0:1], 0x4b0
	s_waitcnt vmcnt(5)
	v_mul_f16_sdwa v114, v80, v44 dst_sel:DWORD dst_unused:UNUSED_PAD src0_sel:DWORD src1_sel:WORD_1
	v_fma_f16 v197, v58, v44, -v114
	v_mul_f16_sdwa v58, v58, v44 dst_sel:DWORD dst_unused:UNUSED_PAD src0_sel:DWORD src1_sel:WORD_1
	v_fma_f16 v58, v80, v44, v58
	v_mul_f16_sdwa v80, v56, v45 dst_sel:DWORD dst_unused:UNUSED_PAD src0_sel:DWORD src1_sel:WORD_1
	v_fma_f16 v198, v60, v45, -v80
	v_mul_f16_sdwa v60, v60, v45 dst_sel:DWORD dst_unused:UNUSED_PAD src0_sel:DWORD src1_sel:WORD_1
	v_fma_f16 v56, v56, v45, v60
	;; [unrolled: 4-line block ×3, first 2 shown]
	v_mul_f16_sdwa v62, v87, v47 dst_sel:DWORD dst_unused:UNUSED_PAD src0_sel:DWORD src1_sel:WORD_1
	v_mul_f16_sdwa v80, v82, v47 dst_sel:DWORD dst_unused:UNUSED_PAD src0_sel:DWORD src1_sel:WORD_1
	v_fma_f16 v62, v82, v47, -v62
	v_fma_f16 v82, v87, v47, v80
	s_waitcnt vmcnt(4)
	v_mul_f16_sdwa v80, v111, v170 dst_sel:DWORD dst_unused:UNUSED_PAD src0_sel:DWORD src1_sel:WORD_1
	v_fma_f16 v87, v84, v170, -v80
	v_mul_f16_sdwa v80, v84, v170 dst_sel:DWORD dst_unused:UNUSED_PAD src0_sel:DWORD src1_sel:WORD_1
	v_fma_f16 v84, v111, v170, v80
	s_waitcnt vmcnt(3)
	v_mul_f16_sdwa v80, v113, v48 dst_sel:DWORD dst_unused:UNUSED_PAD src0_sel:DWORD src1_sel:WORD_1
	v_fma_f16 v114, v59, v48, -v80
	v_mul_f16_sdwa v59, v59, v48 dst_sel:DWORD dst_unused:UNUSED_PAD src0_sel:DWORD src1_sel:WORD_1
	v_fma_f16 v113, v113, v48, v59
	v_mul_f16_sdwa v59, v115, v49 dst_sel:DWORD dst_unused:UNUSED_PAD src0_sel:DWORD src1_sel:WORD_1
	v_fma_f16 v187, v61, v49, -v59
	v_mul_f16_sdwa v59, v61, v49 dst_sel:DWORD dst_unused:UNUSED_PAD src0_sel:DWORD src1_sel:WORD_1
	v_fma_f16 v189, v115, v49, v59
	;; [unrolled: 4-line block ×4, first 2 shown]
	s_waitcnt vmcnt(2)
	v_mul_f16_sdwa v59, v184, v171 dst_sel:DWORD dst_unused:UNUSED_PAD src0_sel:DWORD src1_sel:WORD_1
	v_fma_f16 v186, v85, v171, -v59
	v_mul_f16_sdwa v59, v85, v171 dst_sel:DWORD dst_unused:UNUSED_PAD src0_sel:DWORD src1_sel:WORD_1
	v_fma_f16 v188, v184, v171, v59
	s_waitcnt vmcnt(1)
	v_mul_f16_sdwa v59, v192, v52 dst_sel:DWORD dst_unused:UNUSED_PAD src0_sel:DWORD src1_sel:WORD_1
	v_fma_f16 v83, v101, v52, -v59
	v_mul_f16_sdwa v59, v101, v52 dst_sel:DWORD dst_unused:UNUSED_PAD src0_sel:DWORD src1_sel:WORD_1
	v_fma_f16 v80, v192, v52, v59
	v_mul_f16_sdwa v59, v193, v53 dst_sel:DWORD dst_unused:UNUSED_PAD src0_sel:DWORD src1_sel:WORD_1
	v_fma_f16 v101, v99, v53, -v59
	v_mul_f16_sdwa v59, v99, v53 dst_sel:DWORD dst_unused:UNUSED_PAD src0_sel:DWORD src1_sel:WORD_1
	v_fma_f16 v99, v193, v53, v59
	;; [unrolled: 4-line block ×4, first 2 shown]
	s_waitcnt vmcnt(0)
	v_mul_f16_sdwa v59, v196, v176 dst_sel:DWORD dst_unused:UNUSED_PAD src0_sel:DWORD src1_sel:WORD_1
	v_fma_f16 v183, v93, v176, -v59
	v_mul_f16_sdwa v59, v93, v176 dst_sel:DWORD dst_unused:UNUSED_PAD src0_sel:DWORD src1_sel:WORD_1
	v_fma_f16 v93, v196, v176, v59
	v_add_f16_e32 v59, v66, v198
	v_add_f16_e32 v184, v59, v62
	v_add_f16_e32 v59, v198, v62
	v_fma_f16 v59, v59, -0.5, v66
	v_sub_f16_e32 v61, v56, v82
	v_fma_f16 v66, v61, s9, v59
	v_fma_f16 v192, v61, s8, v59
	v_add_f16_e32 v59, v86, v56
	v_add_f16_e32 v56, v56, v82
	v_add_f16_e32 v193, v59, v82
	v_fma_f16 v56, v56, -0.5, v86
	v_sub_f16_e32 v59, v198, v62
	v_fma_f16 v82, v59, s8, v56
	;; [unrolled: 7-line block ×4, first 2 shown]
	v_fma_f16 v84, v57, s9, v56
	global_load_dwordx4 v[56:59], v[64:65], off offset:2600
	v_mul_f16_e32 v62, 0x3aee, v60
	v_fma_f16 v87, v61, 0.5, v62
	v_mul_f16_e32 v62, -0.5, v195
	v_mul_f16_e32 v61, 0xbaee, v61
	v_fma_f16 v199, v84, s9, v62
	v_fma_f16 v202, v60, 0.5, v61
	global_load_dword v182, v[64:65], off offset:3816
	global_load_dwordx4 v[60:63], v[64:65], off offset:3800
	v_add_f16_e32 v198, v66, v87
	v_sub_f16_e32 v206, v66, v87
	v_add_f16_e32 v66, v187, v190
	v_mul_f16_e32 v84, -0.5, v84
	v_add_f16_e32 v209, v67, v187
	v_fma_f16 v210, v66, -0.5, v67
	v_add_f16_e32 v67, v101, v111
	v_add_f16_e32 v203, v82, v202
	v_fma_f16 v84, v195, s8, v84
	v_sub_f16_e32 v202, v82, v202
	v_fma_f16 v67, v67, -0.5, v89
	v_sub_f16_e32 v82, v99, v95
	v_add_f16_e32 v204, v86, v84
	v_sub_f16_e32 v208, v86, v84
	v_fma_f16 v86, v82, s9, v67
	v_fma_f16 v87, v82, s8, v67
	v_add_f16_e32 v82, v85, v183
	v_add_f16_e32 v67, v83, v85
	v_fma_f16 v82, v82, -0.5, v83
	v_sub_f16_e32 v83, v97, v93
	v_add_f16_e32 v67, v67, v183
	v_fma_f16 v211, v83, s9, v82
	v_fma_f16 v212, v83, s8, v82
	v_sub_f16_e32 v83, v85, v183
	global_load_dword v183, v[64:65], off offset:2616
	v_add_f16_e32 v66, v89, v101
	v_add_f16_e32 v82, v97, v93
	;; [unrolled: 1-line block ×3, first 2 shown]
	v_fma_f16 v82, v82, -0.5, v80
	v_lshl_add_u64 v[64:65], v[64:65], 0, s[0:1]
	v_add_f16_e32 v197, v184, v194
	v_sub_f16_e32 v205, v184, v194
	v_fma_f16 v213, v83, s8, v82
	v_fma_f16 v214, v83, s9, v82
	v_add_f16_e32 v82, v66, v67
	v_sub_f16_e32 v85, v66, v67
	global_load_dword v184, v[64:65], off offset:3816
	s_nop 0
	global_load_dwordx4 v[64:67], v[64:65], off offset:3800
	v_add_f16_e32 v200, v192, v199
	v_sub_f16_e32 v207, v192, v199
	v_sub_f16_e32 v199, v193, v196
	v_mul_f16_e32 v83, 0x3aee, v213
	v_mul_f16_e32 v84, -0.5, v212
	v_add_f16_e32 v201, v193, v196
	v_fma_f16 v192, v211, 0.5, v83
	v_fma_f16 v193, v214, s9, v84
	v_pack_b32_f16 v196, v198, v203
	v_pack_b32_f16 v198, v200, v204
	;; [unrolled: 1-line block ×4, first 2 shown]
	v_add_f16_e32 v83, v86, v192
	v_add_f16_e32 v84, v87, v193
	v_sub_f16_e32 v86, v86, v192
	v_sub_f16_e32 v87, v87, v193
	ds_read2_b32 v[192:193], v180 offset0:72 offset1:132
	v_pack_b32_f16 v201, v197, v201
	ds_read2_b32 v[194:195], v178 offset0:176 offset1:236
	ds_write_b32 v68, v196 offset:1440
	ds_read2_b32 v[196:197], v179 offset0:24 offset1:84
	ds_write_b32 v68, v198 offset:2880
	;; [unrolled: 2-line block ×3, first 2 shown]
	v_add_f16_e32 v200, v112, v189
	v_add_f16_e32 v204, v114, v115
	ds_write_b32 v68, v202 offset:5760
	v_add_f16_e32 v202, v113, v185
	v_add_f16_e32 v203, v209, v190
	;; [unrolled: 1-line block ×5, first 2 shown]
	v_pack_b32_f16 v205, v207, v208
	v_add_f16_e32 v206, v203, v204
	ds_write_b32 v68, v205 offset:7200
	v_add_f16_e32 v205, v200, v202
	v_pack_b32_f16 v205, v206, v205
	v_lshrrev_b32_e32 v206, 16, v102
	ds_write2_b32 v68, v201, v205 offset1:60
	s_waitcnt vmcnt(5)
	v_mul_f16_sdwa v205, v206, v56 dst_sel:DWORD dst_unused:UNUSED_PAD src0_sel:DWORD src1_sel:WORD_1
	v_mul_f16_sdwa v201, v102, v56 dst_sel:DWORD dst_unused:UNUSED_PAD src0_sel:DWORD src1_sel:WORD_1
	v_fma_f16 v102, v102, v56, -v205
	v_lshrrev_b32_e32 v205, 16, v103
	v_fma_f16 v201, v206, v56, v201
	s_waitcnt vmcnt(3)
	v_mul_f16_sdwa v206, v205, v60 dst_sel:DWORD dst_unused:UNUSED_PAD src0_sel:DWORD src1_sel:WORD_1
	v_fma_f16 v206, v103, v60, -v206
	v_mul_f16_sdwa v103, v103, v60 dst_sel:DWORD dst_unused:UNUSED_PAD src0_sel:DWORD src1_sel:WORD_1
	v_fma_f16 v103, v205, v60, v103
	s_waitcnt lgkmcnt(9)
	v_lshrrev_b32_e32 v205, 16, v192
	v_mul_f16_sdwa v207, v192, v57 dst_sel:DWORD dst_unused:UNUSED_PAD src0_sel:DWORD src1_sel:WORD_1
	v_fma_f16 v207, v205, v57, v207
	v_mul_f16_sdwa v205, v205, v57 dst_sel:DWORD dst_unused:UNUSED_PAD src0_sel:DWORD src1_sel:WORD_1
	v_fma_f16 v192, v192, v57, -v205
	v_lshrrev_b32_e32 v205, 16, v193
	v_mul_f16_sdwa v208, v205, v61 dst_sel:DWORD dst_unused:UNUSED_PAD src0_sel:DWORD src1_sel:WORD_1
	v_fma_f16 v208, v193, v61, -v208
	v_mul_f16_sdwa v193, v193, v61 dst_sel:DWORD dst_unused:UNUSED_PAD src0_sel:DWORD src1_sel:WORD_1
	v_fma_f16 v193, v205, v61, v193
	s_waitcnt lgkmcnt(8)
	v_lshrrev_b32_e32 v205, 16, v194
	v_mul_f16_sdwa v209, v194, v58 dst_sel:DWORD dst_unused:UNUSED_PAD src0_sel:DWORD src1_sel:WORD_1
	v_fma_f16 v209, v205, v58, v209
	v_mul_f16_sdwa v205, v205, v58 dst_sel:DWORD dst_unused:UNUSED_PAD src0_sel:DWORD src1_sel:WORD_1
	v_fma_f16 v194, v194, v58, -v205
	v_lshrrev_b32_e32 v205, 16, v195
	;; [unrolled: 11-line block ×3, first 2 shown]
	v_mul_f16_sdwa v217, v205, v63 dst_sel:DWORD dst_unused:UNUSED_PAD src0_sel:DWORD src1_sel:WORD_1
	v_fma_f16 v217, v197, v63, -v217
	v_mul_f16_sdwa v197, v197, v63 dst_sel:DWORD dst_unused:UNUSED_PAD src0_sel:DWORD src1_sel:WORD_1
	v_fma_f16 v197, v205, v63, v197
	s_waitcnt lgkmcnt(4)
	v_lshrrev_b32_e32 v205, 16, v198
	s_waitcnt vmcnt(2)
	v_mul_f16_sdwa v218, v198, v183 dst_sel:DWORD dst_unused:UNUSED_PAD src0_sel:DWORD src1_sel:WORD_1
	v_fma_f16 v218, v205, v183, v218
	v_mul_f16_sdwa v205, v205, v183 dst_sel:DWORD dst_unused:UNUSED_PAD src0_sel:DWORD src1_sel:WORD_1
	v_fma_f16 v198, v198, v183, -v205
	v_lshrrev_b32_e32 v205, 16, v199
	v_mul_f16_sdwa v219, v205, v182 dst_sel:DWORD dst_unused:UNUSED_PAD src0_sel:DWORD src1_sel:WORD_1
	v_fma_f16 v219, v199, v182, -v219
	v_mul_f16_sdwa v199, v199, v182 dst_sel:DWORD dst_unused:UNUSED_PAD src0_sel:DWORD src1_sel:WORD_1
	v_fma_f16 v199, v205, v182, v199
	v_lshrrev_b32_e32 v205, 16, v100
	s_waitcnt vmcnt(0)
	v_mul_f16_sdwa v220, v205, v64 dst_sel:DWORD dst_unused:UNUSED_PAD src0_sel:DWORD src1_sel:WORD_1
	v_fma_f16 v220, v100, v64, -v220
	v_mul_f16_sdwa v100, v100, v64 dst_sel:DWORD dst_unused:UNUSED_PAD src0_sel:DWORD src1_sel:WORD_1
	v_fma_f16 v205, v205, v64, v100
	v_lshrrev_b32_e32 v100, 16, v98
	v_mul_f16_sdwa v221, v100, v65 dst_sel:DWORD dst_unused:UNUSED_PAD src0_sel:DWORD src1_sel:WORD_1
	v_fma_f16 v221, v98, v65, -v221
	v_mul_f16_sdwa v98, v98, v65 dst_sel:DWORD dst_unused:UNUSED_PAD src0_sel:DWORD src1_sel:WORD_1
	v_fma_f16 v222, v100, v65, v98
	v_lshrrev_b32_e32 v98, 16, v96
	;; [unrolled: 5-line block ×4, first 2 shown]
	v_mul_f16_sdwa v96, v94, v184 dst_sel:DWORD dst_unused:UNUSED_PAD src0_sel:DWORD src1_sel:WORD_1
	v_fma_f16 v227, v92, v184, -v96
	v_add_f16_e32 v96, v189, v191
	v_fma_f16 v96, v96, -0.5, v112
	v_sub_f16_e32 v98, v187, v190
	v_fma_f16 v100, v98, s8, v96
	v_fma_f16 v96, v98, s9, v96
	v_add_f16_e32 v98, v115, v186
	v_fma_f16 v98, v98, -0.5, v114
	v_sub_f16_e32 v112, v185, v188
	v_fma_f16 v114, v112, s9, v98
	v_fma_f16 v98, v112, s8, v98
	;; [unrolled: 5-line block ×3, first 2 shown]
	v_mul_f16_e32 v113, 0x3aee, v115
	v_mul_f16_sdwa v92, v92, v184 dst_sel:DWORD dst_unused:UNUSED_PAD src0_sel:DWORD src1_sel:WORD_1
	v_fma_f16 v113, v114, 0.5, v113
	v_mul_f16_e32 v114, 0xbaee, v114
	v_fma_f16 v228, v94, v184, v92
	v_sub_f16_e32 v92, v189, v191
	v_fma_f16 v114, v115, 0.5, v114
	v_mul_f16_e32 v115, -0.5, v98
	v_fma_f16 v94, v92, s9, v210
	v_fma_f16 v92, v92, s8, v210
	v_fma_f16 v115, v112, s9, v115
	v_mul_f16_e32 v112, -0.5, v112
	v_fma_f16 v98, v98, s8, v112
	v_sub_f16_e32 v112, v203, v204
	v_add_f16_e32 v203, v92, v115
	v_sub_f16_e32 v115, v92, v115
	v_add_f16_e32 v92, v192, v196
	v_add_f16_e32 v191, v94, v113
	v_sub_f16_e32 v113, v94, v113
	v_fma_f16 v92, v92, -0.5, v90
	v_sub_f16_e32 v94, v207, v216
	v_add_f16_e32 v204, v96, v98
	v_sub_f16_e32 v210, v96, v98
	v_fma_f16 v96, v94, s9, v92
	v_fma_f16 v98, v94, s8, v92
	v_lshrrev_b32_e32 v92, 16, v90
	v_add_f16_e32 v94, v92, v207
	v_sub_f16_e32 v200, v200, v202
	v_add_f16_e32 v202, v100, v114
	v_sub_f16_e32 v114, v100, v114
	v_add_f16_e32 v100, v94, v216
	v_add_f16_e32 v94, v207, v216
	v_fma_f16 v92, v94, -0.5, v92
	v_sub_f16_e32 v94, v192, v196
	v_fma_f16 v185, v94, s8, v92
	v_fma_f16 v186, v94, s9, v92
	v_add_f16_e32 v92, v194, v198
	v_fma_f16 v92, v92, -0.5, v102
	v_sub_f16_e32 v94, v209, v218
	v_fma_f16 v187, v94, s9, v92
	v_fma_f16 v92, v94, s8, v92
	v_add_f16_e32 v94, v201, v209
	v_add_f16_e32 v188, v94, v218
	;; [unrolled: 1-line block ×3, first 2 shown]
	v_fma_f16 v94, v94, -0.5, v201
	v_sub_f16_e32 v189, v194, v198
	v_fma_f16 v190, v189, s8, v94
	v_fma_f16 v94, v189, s9, v94
	v_mul_f16_e32 v189, 0x3aee, v190
	v_fma_f16 v189, v187, 0.5, v189
	v_mul_f16_e32 v187, 0xbaee, v187
	v_add_f16_e32 v90, v90, v192
	v_add_f16_e32 v102, v102, v194
	v_fma_f16 v187, v190, 0.5, v187
	v_mul_f16_e32 v190, -0.5, v92
	v_add_f16_e32 v90, v90, v196
	v_add_f16_e32 v102, v102, v198
	v_fma_f16 v190, v94, s9, v190
	v_mul_f16_e32 v94, -0.5, v94
	v_fma_f16 v192, v92, s8, v94
	v_add_f16_e32 v194, v90, v102
	v_sub_f16_e32 v94, v90, v102
	v_add_f16_e32 v196, v98, v190
	v_sub_f16_e32 v90, v98, v190
	;; [unrolled: 2-line block ×3, first 2 shown]
	v_add_f16_e32 v185, v208, v217
	v_add_f16_e32 v102, v96, v189
	v_sub_f16_e32 v92, v96, v189
	v_add_f16_e32 v207, v186, v192
	v_sub_f16_e32 v96, v186, v192
	v_fma_f16 v185, v185, -0.5, v91
	v_lshrrev_b32_e32 v186, 16, v91
	v_sub_f16_e32 v187, v193, v197
	v_add_f16_e32 v189, v193, v197
	v_add_f16_e32 v198, v100, v188
	v_sub_f16_e32 v100, v100, v188
	v_fma_f16 v188, v187, s9, v185
	v_fma_f16 v185, v187, s8, v185
	v_add_f16_e32 v187, v186, v193
	v_fma_f16 v186, v189, -0.5, v186
	v_sub_f16_e32 v189, v208, v217
	v_fma_f16 v190, v189, s8, v186
	v_fma_f16 v186, v189, s9, v186
	v_add_f16_e32 v189, v215, v219
	v_fma_f16 v189, v189, -0.5, v206
	v_sub_f16_e32 v192, v195, v199
	v_fma_f16 v193, v192, s9, v189
	v_fma_f16 v189, v192, s8, v189
	v_add_f16_e32 v192, v103, v195
	v_add_f16_e32 v195, v195, v199
	;; [unrolled: 1-line block ×3, first 2 shown]
	v_fma_f16 v103, v195, -0.5, v103
	v_sub_f16_e32 v197, v215, v219
	v_add_f16_e32 v192, v192, v199
	v_fma_f16 v199, v197, s8, v103
	v_fma_f16 v103, v197, s9, v103
	v_mul_f16_e32 v197, 0x3aee, v199
	v_fma_f16 v197, v193, 0.5, v197
	v_mul_f16_e32 v193, 0xbaee, v193
	v_fma_f16 v193, v199, 0.5, v193
	v_mul_f16_e32 v199, -0.5, v189
	v_fma_f16 v199, v103, s9, v199
	v_mul_f16_e32 v103, -0.5, v103
	v_add_f16_e32 v91, v91, v208
	v_add_f16_e32 v195, v206, v215
	v_fma_f16 v103, v189, s8, v103
	v_add_f16_e32 v208, v185, v199
	v_sub_f16_e32 v199, v185, v199
	v_add_f16_e32 v185, v221, v225
	v_add_f16_e32 v91, v91, v217
	;; [unrolled: 1-line block ×4, first 2 shown]
	v_sub_f16_e32 v192, v187, v192
	v_add_f16_e32 v216, v186, v103
	v_sub_f16_e32 v103, v186, v103
	v_fma_f16 v185, v185, -0.5, v88
	v_lshrrev_b32_e32 v186, 16, v88
	v_sub_f16_e32 v187, v222, v226
	v_add_f16_e32 v189, v222, v226
	v_add_f16_e32 v206, v91, v195
	v_sub_f16_e32 v91, v91, v195
	v_add_f16_e32 v195, v188, v197
	v_sub_f16_e32 v197, v188, v197
	v_fma_f16 v188, v187, s9, v185
	v_fma_f16 v185, v187, s8, v185
	v_add_f16_e32 v187, v186, v222
	v_fma_f16 v186, v189, -0.5, v186
	v_sub_f16_e32 v189, v221, v225
	v_add_f16_e32 v215, v190, v193
	v_sub_f16_e32 v193, v190, v193
	v_fma_f16 v190, v189, s8, v186
	v_fma_f16 v186, v189, s9, v186
	v_add_f16_e32 v189, v223, v227
	v_fma_f16 v189, v189, -0.5, v220
	v_sub_f16_e32 v217, v224, v228
	v_add_f16_e32 v219, v224, v228
	v_fma_f16 v218, v217, s9, v189
	v_fma_f16 v189, v217, s8, v189
	v_add_f16_e32 v217, v205, v224
	v_fma_f16 v205, v219, -0.5, v205
	v_add_f16_e32 v219, v220, v223
	v_sub_f16_e32 v220, v223, v227
	v_add_f16_e32 v88, v88, v221
	v_fma_f16 v221, v220, s8, v205
	v_fma_f16 v205, v220, s9, v205
	v_mul_f16_e32 v220, 0x3aee, v221
	v_fma_f16 v220, v218, 0.5, v220
	v_mul_f16_e32 v218, 0xbaee, v218
	v_fma_f16 v218, v221, 0.5, v218
	v_mul_f16_e32 v221, -0.5, v189
	v_lshrrev_b32_e32 v89, 16, v89
	v_fma_f16 v221, v205, s9, v221
	v_add_f16_e32 v222, v185, v221
	v_sub_f16_e32 v221, v185, v221
	v_add_f16_e32 v185, v89, v99
	v_add_f16_e32 v185, v185, v95
	;; [unrolled: 1-line block ×4, first 2 shown]
	v_mul_f16_e32 v205, -0.5, v205
	v_fma_f16 v89, v95, -0.5, v89
	v_sub_f16_e32 v95, v101, v111
	v_add_f16_e32 v80, v80, v93
	v_mul_f16_e32 v93, 0xbaee, v211
	v_add_f16_e32 v187, v187, v226
	v_add_f16_e32 v88, v88, v225
	v_add_f16_e32 v217, v217, v228
	v_add_f16_e32 v219, v219, v227
	v_fma_f16 v189, v189, s8, v205
	v_fma_f16 v99, v95, s8, v89
	;; [unrolled: 1-line block ×3, first 2 shown]
	v_fma_f16 v93, v213, 0.5, v93
	v_mul_f16_e32 v95, -0.5, v214
	v_add_f16_e32 v205, v88, v219
	v_sub_f16_e32 v88, v88, v219
	v_add_f16_e32 v219, v188, v220
	v_sub_f16_e32 v220, v188, v220
	;; [unrolled: 2-line block ×4, first 2 shown]
	v_fma_f16 v95, v212, s8, v95
	v_add_f16_e32 v187, v185, v80
	v_sub_f16_e32 v188, v185, v80
	v_add_f16_e32 v186, v99, v93
	v_sub_f16_e32 v189, v99, v93
	v_pack_b32_f16 v80, v191, v202
	v_pack_b32_f16 v93, v112, v200
	;; [unrolled: 1-line block ×3, first 2 shown]
	v_add_f16_e32 v224, v190, v218
	v_sub_f16_e32 v218, v190, v218
	v_add_f16_e32 v185, v89, v95
	v_sub_f16_e32 v190, v89, v95
	v_pack_b32_f16 v89, v203, v204
	ds_write_b32 v68, v93 offset:4560
	ds_write2_b32 v105, v80, v97 offset0:164 offset1:224
	v_pack_b32_f16 v80, v196, v207
	ds_write2_b32 v180, v89, v80 offset0:12 offset1:72
	v_pack_b32_f16 v80, v94, v100
	v_pack_b32_f16 v93, v113, v114
	ds_write_b32 v68, v80 offset:4800
	v_pack_b32_f16 v80, v92, v98
	v_add_u32_e32 v97, 0x1600, v68
	v_pack_b32_f16 v95, v115, v210
	ds_write2_b32 v97, v93, v80 offset0:92 offset1:152
	v_pack_b32_f16 v80, v90, v96
	v_pack_b32_f16 v99, v194, v198
	ds_write2_b32 v106, v95, v80 offset0:68 offset1:128
	v_pack_b32_f16 v80, v206, v209
	ds_write2_b32 v68, v99, v80 offset0:120 offset1:180
	v_pack_b32_f16 v80, v195, v215
	v_pack_b32_f16 v94, v219, v224
	;; [unrolled: 1-line block ×3, first 2 shown]
	ds_write2_b32 v108, v80, v94 offset0:28 offset1:88
	v_pack_b32_f16 v80, v222, v225
	v_pack_b32_f16 v90, v91, v192
	ds_write2_b32 v180, v89, v80 offset0:132 offset1:192
	v_pack_b32_f16 v80, v88, v217
	v_add_u32_e32 v96, 0x1200, v68
	v_pack_b32_f16 v91, v197, v193
	ds_write2_b32 v96, v90, v80 offset0:108 offset1:168
	v_pack_b32_f16 v80, v220, v218
	v_pack_b32_f16 v92, v199, v103
	ds_write2_b32 v179, v91, v80 offset0:84 offset1:144
	v_pack_b32_f16 v80, v221, v226
	;; [unrolled: 3-line block ×3, first 2 shown]
	ds_write2_b32 v110, v93, v80 offset0:112 offset1:172
	v_pack_b32_f16 v80, v83, v186
	ds_write_b32 v68, v80 offset:2640
	v_pack_b32_f16 v80, v84, v185
	ds_write_b32 v68, v80 offset:4080
	;; [unrolled: 2-line block ×3, first 2 shown]
	v_pack_b32_f16 v80, v86, v189
	s_add_u32 s0, s12, 0x21c0
	ds_write_b32 v68, v80 offset:6960
	v_pack_b32_f16 v80, v87, v190
	s_addc_u32 s1, s13, 0
	ds_write_b32 v68, v80 offset:8400
	v_lshlrev_b32_e32 v80, 2, v72
	s_waitcnt lgkmcnt(0)
	; wave barrier
	s_waitcnt lgkmcnt(0)
	global_load_dword v100, v80, s[0:1]
	global_load_dword v102, v80, s[0:1] offset:864
	global_load_dword v111, v80, s[0:1] offset:1728
	;; [unrolled: 1-line block ×4, first 2 shown]
	s_movk_i32 s8, 0x1000
	v_lshl_add_u64 v[88:89], s[0:1], 0, v[80:81]
	v_add_co_u32_e32 v90, vcc, s8, v88
	s_nop 1
	v_addc_co_u32_e32 v91, vcc, 0, v89, vcc
	global_load_dword v81, v[90:91], off offset:1952
	global_load_dword v191, v80, s[0:1] offset:1104
	global_load_dword v192, v80, s[0:1] offset:240
	;; [unrolled: 1-line block ×3, first 2 shown]
	global_load_dword v193, v[90:91], off offset:2192
	ds_read2_b32 v[92:93], v68 offset1:60
	v_add_co_u32_e32 v94, vcc, 0x2000, v88
	s_waitcnt lgkmcnt(0)
	v_lshrrev_b32_e32 v101, 16, v92
	v_addc_co_u32_e32 v95, vcc, 0, v89, vcc
	global_load_dword v194, v[94:95], off offset:64
	global_load_dword v196, v80, s[0:1] offset:2832
	s_waitcnt vmcnt(11)
	v_mul_f16_sdwa v94, v101, v100 dst_sel:DWORD dst_unused:UNUSED_PAD src0_sel:DWORD src1_sel:WORD_1
	v_fma_f16 v94, v92, v100, -v94
	v_mul_f16_sdwa v92, v92, v100 dst_sel:DWORD dst_unused:UNUSED_PAD src0_sel:DWORD src1_sel:WORD_1
	v_fma_f16 v92, v101, v100, v92
	v_pack_b32_f16 v92, v94, v92
	ds_write_b32 v68, v92
	ds_read2_b32 v[94:95], v68 offset0:120 offset1:216
	global_load_dword v197, v80, s[0:1] offset:2208
	global_load_dword v198, v80, s[0:1] offset:1344
	;; [unrolled: 1-line block ×4, first 2 shown]
	global_load_dword v201, v[90:91], off offset:224
	ds_read2_b32 v[100:101], v105 offset0:176 offset1:236
	s_waitcnt lgkmcnt(1)
	v_lshrrev_b32_e32 v92, 16, v95
	s_waitcnt vmcnt(15)
	v_mul_f16_sdwa v103, v92, v102 dst_sel:DWORD dst_unused:UNUSED_PAD src0_sel:DWORD src1_sel:WORD_1
	v_fma_f16 v103, v95, v102, -v103
	v_mul_f16_sdwa v95, v95, v102 dst_sel:DWORD dst_unused:UNUSED_PAD src0_sel:DWORD src1_sel:WORD_1
	v_fma_f16 v92, v92, v102, v95
	v_pack_b32_f16 v92, v103, v92
	ds_read2_b32 v[102:103], v108 offset0:40 offset1:136
	global_load_dword v203, v[90:91], off offset:464
	global_load_dword v204, v80, s[0:1] offset:3936
	global_load_dword v205, v80, s[0:1] offset:3072
	s_waitcnt lgkmcnt(1)
	v_lshrrev_b32_e32 v95, 16, v100
	s_waitcnt vmcnt(17)
	v_mul_f16_sdwa v112, v95, v111 dst_sel:DWORD dst_unused:UNUSED_PAD src0_sel:DWORD src1_sel:WORD_1
	v_fma_f16 v202, v100, v111, -v112
	ds_read2_b32 v[112:113], v180 offset0:96 offset1:156
	global_load_dword v206, v[90:91], off offset:704
	global_load_dword v207, v[90:91], off offset:1568
	;; [unrolled: 1-line block ×4, first 2 shown]
	ds_read2_b32 v[114:115], v107 offset0:136 offset1:232
	global_load_dword v104, v104, s[0:1]
	s_nop 0
	global_load_dword v211, v[90:91], off offset:2432
	global_load_dword v212, v[90:91], off offset:3920
	global_load_dword v213, v[90:91], off offset:3680
	global_load_dword v214, v[90:91], off offset:3296
	global_load_dword v215, v[90:91], off offset:3056
	v_mul_f16_sdwa v100, v100, v111 dst_sel:DWORD dst_unused:UNUSED_PAD src0_sel:DWORD src1_sel:WORD_1
	v_fma_f16 v95, v95, v111, v100
	s_waitcnt lgkmcnt(2)
	v_lshrrev_b32_e32 v100, 16, v103
	s_waitcnt vmcnt(26)
	v_mul_f16_sdwa v80, v100, v98 dst_sel:DWORD dst_unused:UNUSED_PAD src0_sel:DWORD src1_sel:WORD_1
	v_fma_f16 v80, v103, v98, -v80
	v_mul_f16_sdwa v103, v103, v98 dst_sel:DWORD dst_unused:UNUSED_PAD src0_sel:DWORD src1_sel:WORD_1
	v_fma_f16 v98, v100, v98, v103
	v_pack_b32_f16 v100, v80, v98
	s_waitcnt lgkmcnt(1)
	v_lshrrev_b32_e32 v80, 16, v112
	s_waitcnt vmcnt(25)
	v_mul_f16_sdwa v98, v80, v99 dst_sel:DWORD dst_unused:UNUSED_PAD src0_sel:DWORD src1_sel:WORD_1
	v_fma_f16 v103, v112, v99, -v98
	v_mul_f16_sdwa v98, v112, v99 dst_sel:DWORD dst_unused:UNUSED_PAD src0_sel:DWORD src1_sel:WORD_1
	v_fma_f16 v210, v80, v99, v98
	ds_read2_b32 v[98:99], v105 offset0:20 offset1:80
	s_waitcnt lgkmcnt(1)
	v_lshrrev_b32_e32 v80, 16, v115
	s_waitcnt vmcnt(24)
	v_mul_f16_sdwa v111, v115, v81 dst_sel:DWORD dst_unused:UNUSED_PAD src0_sel:DWORD src1_sel:WORD_1
	v_fma_f16 v111, v80, v81, v111
	v_mul_f16_sdwa v80, v80, v81 dst_sel:DWORD dst_unused:UNUSED_PAD src0_sel:DWORD src1_sel:WORD_1
	v_fma_f16 v80, v115, v81, -v80
	v_pack_b32_f16 v111, v80, v111
	s_waitcnt lgkmcnt(0)
	v_lshrrev_b32_e32 v80, 16, v98
	s_waitcnt vmcnt(23)
	v_mul_f16_sdwa v81, v98, v191 dst_sel:DWORD dst_unused:UNUSED_PAD src0_sel:DWORD src1_sel:WORD_1
	v_fma_f16 v81, v80, v191, v81
	v_mul_f16_sdwa v80, v80, v191 dst_sel:DWORD dst_unused:UNUSED_PAD src0_sel:DWORD src1_sel:WORD_1
	v_fma_f16 v80, v98, v191, -v80
	v_pack_b32_f16 v80, v80, v81
	ds_write2_b32 v110, v92, v80 offset0:88 offset1:148
	ds_read2_b32 v[80:81], v179 offset0:36 offset1:96
	v_lshrrev_b32_e32 v98, 16, v93
	s_waitcnt vmcnt(22)
	v_mul_f16_sdwa v92, v98, v192 dst_sel:DWORD dst_unused:UNUSED_PAD src0_sel:DWORD src1_sel:WORD_1
	v_fma_f16 v115, v93, v192, -v92
	v_mul_f16_sdwa v92, v93, v192 dst_sel:DWORD dst_unused:UNUSED_PAD src0_sel:DWORD src1_sel:WORD_1
	v_fma_f16 v98, v98, v192, v92
	s_waitcnt lgkmcnt(0)
	v_lshrrev_b32_e32 v92, 16, v80
	s_waitcnt vmcnt(20)
	v_mul_f16_sdwa v93, v80, v193 dst_sel:DWORD dst_unused:UNUSED_PAD src0_sel:DWORD src1_sel:WORD_1
	v_fma_f16 v93, v92, v193, v93
	v_mul_f16_sdwa v92, v92, v193 dst_sel:DWORD dst_unused:UNUSED_PAD src0_sel:DWORD src1_sel:WORD_1
	v_fma_f16 v80, v80, v193, -v92
	v_pack_b32_f16 v80, v80, v93
	ds_read2_b32 v[92:93], v177 offset0:68 offset1:128
	ds_write2_b32 v97, v111, v80 offset0:104 offset1:164
	v_lshrrev_b32_e32 v80, 16, v101
	v_mul_f16_sdwa v97, v80, v195 dst_sel:DWORD dst_unused:UNUSED_PAD src0_sel:DWORD src1_sel:WORD_1
	v_fma_f16 v97, v101, v195, -v97
	v_mul_f16_sdwa v101, v101, v195 dst_sel:DWORD dst_unused:UNUSED_PAD src0_sel:DWORD src1_sel:WORD_1
	v_fma_f16 v191, v80, v195, v101
	s_waitcnt lgkmcnt(1)
	v_lshrrev_b32_e32 v80, 16, v92
	s_waitcnt vmcnt(18)
	v_mul_f16_sdwa v101, v92, v196 dst_sel:DWORD dst_unused:UNUSED_PAD src0_sel:DWORD src1_sel:WORD_1
	v_fma_f16 v101, v80, v196, v101
	v_mul_f16_sdwa v80, v80, v196 dst_sel:DWORD dst_unused:UNUSED_PAD src0_sel:DWORD src1_sel:WORD_1
	v_fma_f16 v80, v92, v196, -v80
	v_pack_b32_f16 v80, v80, v101
	ds_write2_b32 v108, v100, v80 offset0:136 offset1:196
	v_lshrrev_b32_e32 v92, 16, v113
	v_add_u32_e32 v80, 0xe00, v68
	ds_read2_b32 v[100:101], v80 offset0:88 offset1:184
	v_pack_b32_f16 v98, v115, v98
	v_pack_b32_f16 v95, v202, v95
	;; [unrolled: 1-line block ×4, first 2 shown]
	s_waitcnt lgkmcnt(0)
	v_lshrrev_b32_e32 v112, 16, v101
	s_waitcnt vmcnt(14)
	v_mul_f16_sdwa v110, v92, v200 dst_sel:DWORD dst_unused:UNUSED_PAD src0_sel:DWORD src1_sel:WORD_1
	v_fma_f16 v195, v113, v200, -v110
	v_mul_f16_sdwa v110, v113, v200 dst_sel:DWORD dst_unused:UNUSED_PAD src0_sel:DWORD src1_sel:WORD_1
	v_fma_f16 v92, v92, v200, v110
	ds_read2_b32 v[110:111], v178 offset0:116 offset1:176
	s_waitcnt vmcnt(13)
	v_mul_f16_sdwa v113, v101, v201 dst_sel:DWORD dst_unused:UNUSED_PAD src0_sel:DWORD src1_sel:WORD_1
	v_fma_f16 v113, v112, v201, v113
	v_mul_f16_sdwa v112, v112, v201 dst_sel:DWORD dst_unused:UNUSED_PAD src0_sel:DWORD src1_sel:WORD_1
	v_fma_f16 v101, v101, v201, -v112
	s_waitcnt lgkmcnt(0)
	v_lshrrev_b32_e32 v192, 16, v110
	s_waitcnt vmcnt(12)
	v_mul_f16_sdwa v112, v110, v203 dst_sel:DWORD dst_unused:UNUSED_PAD src0_sel:DWORD src1_sel:WORD_1
	v_pack_b32_f16 v101, v101, v113
	v_fma_f16 v193, v192, v203, v112
	ds_read2_b32 v[112:113], v107 offset0:16 offset1:76
	v_mul_f16_sdwa v192, v192, v203 dst_sel:DWORD dst_unused:UNUSED_PAD src0_sel:DWORD src1_sel:WORD_1
	v_fma_f16 v110, v110, v203, -v192
	v_pack_b32_f16 v110, v110, v193
	ds_write2_b32 v178, v101, v110 offset0:56 offset1:116
	s_waitcnt lgkmcnt(1)
	v_lshrrev_b32_e32 v101, 16, v112
	s_waitcnt vmcnt(6)
	v_mul_f16_sdwa v110, v112, v209 dst_sel:DWORD dst_unused:UNUSED_PAD src0_sel:DWORD src1_sel:WORD_1
	ds_read2_b32 v[192:193], v179 offset0:192 offset1:252
	v_fma_f16 v110, v101, v209, v110
	v_mul_f16_sdwa v101, v101, v209 dst_sel:DWORD dst_unused:UNUSED_PAD src0_sel:DWORD src1_sel:WORD_1
	v_fma_f16 v101, v112, v209, -v101
	v_lshrrev_b32_e32 v112, 16, v113
	v_mul_f16_sdwa v196, v112, v208 dst_sel:DWORD dst_unused:UNUSED_PAD src0_sel:DWORD src1_sel:WORD_1
	v_fma_f16 v196, v113, v208, -v196
	v_mul_f16_sdwa v113, v113, v208 dst_sel:DWORD dst_unused:UNUSED_PAD src0_sel:DWORD src1_sel:WORD_1
	v_fma_f16 v200, v112, v208, v113
	s_waitcnt lgkmcnt(0)
	v_lshrrev_b32_e32 v112, 16, v192
	s_waitcnt vmcnt(5)
	v_mul_f16_sdwa v113, v192, v104 dst_sel:DWORD dst_unused:UNUSED_PAD src0_sel:DWORD src1_sel:WORD_1
	v_fma_f16 v201, v112, v104, v113
	v_mul_f16_sdwa v112, v112, v104 dst_sel:DWORD dst_unused:UNUSED_PAD src0_sel:DWORD src1_sel:WORD_1
	v_fma_f16 v104, v192, v104, -v112
	v_lshrrev_b32_e32 v192, 16, v193
	ds_read2_b32 v[112:113], v106 offset0:56 offset1:152
	s_waitcnt vmcnt(0)
	v_mul_f16_sdwa v203, v192, v215 dst_sel:DWORD dst_unused:UNUSED_PAD src0_sel:DWORD src1_sel:WORD_1
	v_fma_f16 v203, v193, v215, -v203
	v_mul_f16_sdwa v193, v193, v215 dst_sel:DWORD dst_unused:UNUSED_PAD src0_sel:DWORD src1_sel:WORD_1
	v_fma_f16 v208, v192, v215, v193
	ds_read2_b32 v[192:193], v181 offset0:84 offset1:144
	s_waitcnt lgkmcnt(1)
	v_lshrrev_b32_e32 v209, 16, v113
	v_mul_f16_sdwa v215, v113, v213 dst_sel:DWORD dst_unused:UNUSED_PAD src0_sel:DWORD src1_sel:WORD_1
	v_fma_f16 v215, v209, v213, v215
	v_mul_f16_sdwa v209, v209, v213 dst_sel:DWORD dst_unused:UNUSED_PAD src0_sel:DWORD src1_sel:WORD_1
	v_fma_f16 v113, v113, v213, -v209
	s_waitcnt lgkmcnt(0)
	v_lshrrev_b32_e32 v209, 16, v192
	v_mul_f16_sdwa v213, v192, v212 dst_sel:DWORD dst_unused:UNUSED_PAD src0_sel:DWORD src1_sel:WORD_1
	v_fma_f16 v213, v209, v212, v213
	v_mul_f16_sdwa v209, v209, v212 dst_sel:DWORD dst_unused:UNUSED_PAD src0_sel:DWORD src1_sel:WORD_1
	v_fma_f16 v192, v192, v212, -v209
	v_pack_b32_f16 v113, v113, v215
	v_pack_b32_f16 v192, v192, v213
	ds_write2_b32 v106, v113, v192 offset0:152 offset1:212
	v_lshrrev_b32_e32 v113, 16, v94
	v_mul_f16_sdwa v192, v113, v199 dst_sel:DWORD dst_unused:UNUSED_PAD src0_sel:DWORD src1_sel:WORD_1
	v_fma_f16 v192, v94, v199, -v192
	v_mul_f16_sdwa v94, v94, v199 dst_sel:DWORD dst_unused:UNUSED_PAD src0_sel:DWORD src1_sel:WORD_1
	v_fma_f16 v94, v113, v199, v94
	v_pack_b32_f16 v94, v192, v94
	ds_write2_b32 v68, v98, v94 offset0:60 offset1:120
	v_lshrrev_b32_e32 v94, 16, v99
	v_mul_f16_sdwa v98, v94, v198 dst_sel:DWORD dst_unused:UNUSED_PAD src0_sel:DWORD src1_sel:WORD_1
	v_fma_f16 v98, v99, v198, -v98
	v_mul_f16_sdwa v99, v99, v198 dst_sel:DWORD dst_unused:UNUSED_PAD src0_sel:DWORD src1_sel:WORD_1
	v_fma_f16 v94, v94, v198, v99
	v_pack_b32_f16 v94, v98, v94
	ds_write2_b32 v105, v94, v95 offset0:80 offset1:176
	v_lshrrev_b32_e32 v94, 16, v102
	v_mul_f16_sdwa v95, v94, v197 dst_sel:DWORD dst_unused:UNUSED_PAD src0_sel:DWORD src1_sel:WORD_1
	v_mul_f16_sdwa v98, v102, v197 dst_sel:DWORD dst_unused:UNUSED_PAD src0_sel:DWORD src1_sel:WORD_1
	v_fma_f16 v95, v102, v197, -v95
	v_fma_f16 v94, v94, v197, v98
	v_pack_b32_f16 v94, v95, v94
	ds_write2_b32 v109, v97, v94 offset0:108 offset1:168
	v_lshrrev_b32_e32 v94, 16, v93
	v_mul_f16_sdwa v95, v94, v205 dst_sel:DWORD dst_unused:UNUSED_PAD src0_sel:DWORD src1_sel:WORD_1
	v_fma_f16 v95, v93, v205, -v95
	v_mul_f16_sdwa v93, v93, v205 dst_sel:DWORD dst_unused:UNUSED_PAD src0_sel:DWORD src1_sel:WORD_1
	v_fma_f16 v93, v94, v205, v93
	v_pack_b32_f16 v93, v95, v93
	ds_write2_b32 v180, v93, v103 offset1:96
	v_lshrrev_b32_e32 v93, 16, v100
	v_mul_f16_sdwa v94, v93, v204 dst_sel:DWORD dst_unused:UNUSED_PAD src0_sel:DWORD src1_sel:WORD_1
	v_mul_f16_sdwa v95, v100, v204 dst_sel:DWORD dst_unused:UNUSED_PAD src0_sel:DWORD src1_sel:WORD_1
	v_fma_f16 v94, v100, v204, -v94
	v_fma_f16 v93, v93, v204, v95
	v_pack_b32_f16 v92, v195, v92
	v_pack_b32_f16 v93, v94, v93
	ds_write2_b32 v180, v92, v93 offset0:156 offset1:216
	v_lshrrev_b32_e32 v92, 16, v111
	v_mul_f16_sdwa v93, v92, v206 dst_sel:DWORD dst_unused:UNUSED_PAD src0_sel:DWORD src1_sel:WORD_1
	v_mul_f16_sdwa v94, v111, v206 dst_sel:DWORD dst_unused:UNUSED_PAD src0_sel:DWORD src1_sel:WORD_1
	v_fma_f16 v93, v111, v206, -v93
	v_fma_f16 v92, v92, v206, v94
	v_pack_b32_f16 v101, v101, v110
	v_pack_b32_f16 v92, v93, v92
	ds_write2_b32 v96, v92, v101 offset0:48 offset1:144
	;; [unrolled: 8-line block ×3, first 2 shown]
	v_lshrrev_b32_e32 v92, 16, v81
	v_mul_f16_sdwa v93, v92, v211 dst_sel:DWORD dst_unused:UNUSED_PAD src0_sel:DWORD src1_sel:WORD_1
	v_fma_f16 v93, v81, v211, -v93
	v_mul_f16_sdwa v81, v81, v211 dst_sel:DWORD dst_unused:UNUSED_PAD src0_sel:DWORD src1_sel:WORD_1
	v_fma_f16 v81, v92, v211, v81
	v_pack_b32_f16 v104, v104, v201
	v_pack_b32_f16 v81, v93, v81
	ds_write2_b32 v179, v81, v104 offset0:96 offset1:192
	v_lshrrev_b32_e32 v81, 16, v112
	v_mul_f16_sdwa v92, v81, v214 dst_sel:DWORD dst_unused:UNUSED_PAD src0_sel:DWORD src1_sel:WORD_1
	v_mul_f16_sdwa v93, v112, v214 dst_sel:DWORD dst_unused:UNUSED_PAD src0_sel:DWORD src1_sel:WORD_1
	v_fma_f16 v92, v112, v214, -v92
	v_fma_f16 v81, v81, v214, v93
	v_pack_b32_f16 v113, v203, v208
	v_pack_b32_f16 v81, v92, v81
	v_add_u32_e32 v92, 0x1a00, v68
	ds_write2_b32 v92, v113, v81 offset0:124 offset1:184
	v_lshrrev_b32_e32 v81, 16, v193
	v_mul_f16_sdwa v92, v81, v194 dst_sel:DWORD dst_unused:UNUSED_PAD src0_sel:DWORD src1_sel:WORD_1
	v_mul_f16_sdwa v93, v193, v194 dst_sel:DWORD dst_unused:UNUSED_PAD src0_sel:DWORD src1_sel:WORD_1
	v_fma_f16 v92, v193, v194, -v92
	v_fma_f16 v81, v81, v194, v93
	v_pack_b32_f16 v81, v92, v81
	ds_write_b32 v68, v81 offset:8256
	s_and_saveexec_b64 s[0:1], s[2:3]
	s_cbranch_execz .LBB0_9
; %bb.8:
	global_load_dword v81, v[88:89], off offset:720
	global_load_dword v92, v[88:89], off offset:1584
	;; [unrolled: 1-line block ×9, first 2 shown]
	v_add_co_u32_e32 v88, vcc, 0x2000, v88
	v_add_u32_e32 v90, 0x280, v68
	s_nop 0
	v_addc_co_u32_e32 v89, vcc, 0, v89, vcc
	global_load_dword v100, v[88:89], off offset:304
	ds_read2_b32 v[88:89], v90 offset0:20 offset1:236
	v_add_u32_e32 v91, 0x900, v68
	s_waitcnt lgkmcnt(0)
	v_lshrrev_b32_e32 v101, 16, v88
	v_lshrrev_b32_e32 v102, 16, v89
	s_waitcnt vmcnt(9)
	v_mul_f16_sdwa v103, v101, v81 dst_sel:DWORD dst_unused:UNUSED_PAD src0_sel:DWORD src1_sel:WORD_1
	v_mul_f16_sdwa v104, v88, v81 dst_sel:DWORD dst_unused:UNUSED_PAD src0_sel:DWORD src1_sel:WORD_1
	s_waitcnt vmcnt(8)
	v_mul_f16_sdwa v109, v102, v92 dst_sel:DWORD dst_unused:UNUSED_PAD src0_sel:DWORD src1_sel:WORD_1
	v_mul_f16_sdwa v110, v89, v92 dst_sel:DWORD dst_unused:UNUSED_PAD src0_sel:DWORD src1_sel:WORD_1
	v_fma_f16 v88, v88, v81, -v103
	v_fma_f16 v81, v101, v81, v104
	v_fma_f16 v89, v89, v92, -v109
	v_fma_f16 v92, v102, v92, v110
	v_pack_b32_f16 v81, v88, v81
	v_pack_b32_f16 v88, v89, v92
	ds_write2_b32 v90, v81, v88 offset0:20 offset1:236
	ds_read2_b32 v[88:89], v91 offset0:36 offset1:252
	s_waitcnt lgkmcnt(0)
	v_lshrrev_b32_e32 v81, 16, v88
	s_waitcnt vmcnt(7)
	v_mul_f16_sdwa v90, v88, v93 dst_sel:DWORD dst_unused:UNUSED_PAD src0_sel:DWORD src1_sel:WORD_1
	v_lshrrev_b32_e32 v92, 16, v89
	s_waitcnt vmcnt(6)
	v_mul_f16_sdwa v101, v89, v94 dst_sel:DWORD dst_unused:UNUSED_PAD src0_sel:DWORD src1_sel:WORD_1
	v_mul_f16_sdwa v102, v81, v93 dst_sel:DWORD dst_unused:UNUSED_PAD src0_sel:DWORD src1_sel:WORD_1
	v_fma_f16 v81, v81, v93, v90
	v_mul_f16_sdwa v90, v92, v94 dst_sel:DWORD dst_unused:UNUSED_PAD src0_sel:DWORD src1_sel:WORD_1
	v_fma_f16 v92, v92, v94, v101
	v_fma_f16 v88, v88, v93, -v102
	v_fma_f16 v89, v89, v94, -v90
	v_pack_b32_f16 v81, v88, v81
	v_pack_b32_f16 v88, v89, v92
	ds_write2_b32 v91, v81, v88 offset0:36 offset1:252
	ds_read2_b32 v[88:89], v178 offset0:20 offset1:236
	v_add_u32_e32 v81, 0x1700, v68
	s_waitcnt lgkmcnt(0)
	v_lshrrev_b32_e32 v90, 16, v88
	s_waitcnt vmcnt(5)
	v_mul_f16_sdwa v91, v88, v95 dst_sel:DWORD dst_unused:UNUSED_PAD src0_sel:DWORD src1_sel:WORD_1
	v_lshrrev_b32_e32 v92, 16, v89
	s_waitcnt vmcnt(4)
	v_mul_f16_sdwa v93, v89, v96 dst_sel:DWORD dst_unused:UNUSED_PAD src0_sel:DWORD src1_sel:WORD_1
	v_mul_f16_sdwa v94, v90, v95 dst_sel:DWORD dst_unused:UNUSED_PAD src0_sel:DWORD src1_sel:WORD_1
	v_fma_f16 v90, v90, v95, v91
	v_mul_f16_sdwa v91, v92, v96 dst_sel:DWORD dst_unused:UNUSED_PAD src0_sel:DWORD src1_sel:WORD_1
	v_fma_f16 v92, v92, v96, v93
	v_fma_f16 v88, v88, v95, -v94
	v_fma_f16 v89, v89, v96, -v91
	v_pack_b32_f16 v88, v88, v90
	v_pack_b32_f16 v89, v89, v92
	ds_write2_b32 v178, v88, v89 offset0:20 offset1:236
	ds_read2_b32 v[88:89], v81 offset0:4 offset1:220
	v_add_u32_e32 v92, 0x1d80, v68
	ds_read2_b32 v[90:91], v92 offset0:20 offset1:236
	s_waitcnt lgkmcnt(1)
	v_lshrrev_b32_e32 v93, 16, v88
	s_waitcnt vmcnt(3)
	v_mul_f16_sdwa v94, v88, v97 dst_sel:DWORD dst_unused:UNUSED_PAD src0_sel:DWORD src1_sel:WORD_1
	v_lshrrev_b32_e32 v95, 16, v89
	s_waitcnt vmcnt(2)
	v_mul_f16_sdwa v96, v89, v98 dst_sel:DWORD dst_unused:UNUSED_PAD src0_sel:DWORD src1_sel:WORD_1
	s_waitcnt lgkmcnt(0)
	v_lshrrev_b32_e32 v101, 16, v90
	s_waitcnt vmcnt(1)
	v_mul_f16_sdwa v102, v90, v99 dst_sel:DWORD dst_unused:UNUSED_PAD src0_sel:DWORD src1_sel:WORD_1
	v_lshrrev_b32_e32 v103, 16, v91
	v_mul_f16_sdwa v109, v93, v97 dst_sel:DWORD dst_unused:UNUSED_PAD src0_sel:DWORD src1_sel:WORD_1
	v_fma_f16 v93, v93, v97, v94
	v_mul_f16_sdwa v94, v95, v98 dst_sel:DWORD dst_unused:UNUSED_PAD src0_sel:DWORD src1_sel:WORD_1
	s_waitcnt vmcnt(0)
	v_mul_f16_sdwa v104, v91, v100 dst_sel:DWORD dst_unused:UNUSED_PAD src0_sel:DWORD src1_sel:WORD_1
	v_fma_f16 v95, v95, v98, v96
	v_mul_f16_sdwa v96, v101, v99 dst_sel:DWORD dst_unused:UNUSED_PAD src0_sel:DWORD src1_sel:WORD_1
	v_fma_f16 v101, v101, v99, v102
	v_mul_f16_sdwa v102, v103, v100 dst_sel:DWORD dst_unused:UNUSED_PAD src0_sel:DWORD src1_sel:WORD_1
	v_fma_f16 v88, v88, v97, -v109
	v_fma_f16 v89, v89, v98, -v94
	v_fma_f16 v103, v103, v100, v104
	v_fma_f16 v90, v90, v99, -v96
	v_fma_f16 v91, v91, v100, -v102
	v_pack_b32_f16 v88, v88, v93
	v_pack_b32_f16 v89, v89, v95
	;; [unrolled: 1-line block ×4, first 2 shown]
	ds_write2_b32 v81, v88, v89 offset0:4 offset1:220
	ds_write2_b32 v92, v90, v91 offset0:20 offset1:236
.LBB0_9:
	s_or_b64 exec, exec, s[0:1]
	s_waitcnt lgkmcnt(0)
	; wave barrier
	s_waitcnt lgkmcnt(0)
	ds_read2_b32 v[114:115], v68 offset1:60
	ds_read2_b32 v[110:111], v68 offset0:120 offset1:216
	ds_read2_b32 v[112:113], v105 offset0:176 offset1:236
	;; [unrolled: 1-line block ×14, first 2 shown]
	s_and_saveexec_b64 s[0:1], s[2:3]
	s_cbranch_execz .LBB0_11
; %bb.10:
	v_add_u32_e32 v76, 0x280, v68
	ds_read2_b32 v[82:83], v76 offset0:20 offset1:236
	v_add_u32_e32 v76, 0x900, v68
	ds_read2_b32 v[84:85], v76 offset0:36 offset1:252
	;; [unrolled: 2-line block ×3, first 2 shown]
	v_add_u32_e32 v76, 0x1700, v68
	v_add_u32_e32 v78, 0x1d80, v68
	ds_read2_b32 v[76:77], v76 offset0:4 offset1:220
	ds_read2_b32 v[78:79], v78 offset0:20 offset1:236
	s_waitcnt lgkmcnt(4)
	v_lshrrev_b32_e32 v187, 16, v82
	v_lshrrev_b32_e32 v186, 16, v83
	s_waitcnt lgkmcnt(3)
	v_lshrrev_b32_e32 v185, 16, v84
	v_lshrrev_b32_e32 v188, 16, v85
	;; [unrolled: 3-line block ×5, first 2 shown]
.LBB0_11:
	s_or_b64 exec, exec, s[0:1]
	s_waitcnt lgkmcnt(8)
	v_add_f16_e32 v178, v98, v100
	v_fma_f16 v178, v178, -0.5, v114
	s_waitcnt lgkmcnt(6)
	v_sub_f16_sdwa v179, v112, v102 dst_sel:DWORD dst_unused:UNUSED_PAD src0_sel:WORD_1 src1_sel:WORD_1
	s_mov_b32 s8, 0xbb9c
	s_movk_i32 s13, 0x3b9c
	v_fma_f16 v180, v179, s8, v178
	v_sub_f16_sdwa v181, v98, v100 dst_sel:DWORD dst_unused:UNUSED_PAD src0_sel:WORD_1 src1_sel:WORD_1
	s_mov_b32 s9, 0xb8b4
	v_sub_f16_e32 v191, v102, v100
	v_sub_f16_e32 v192, v112, v98
	v_fma_f16 v178, v179, s13, v178
	s_movk_i32 s14, 0x38b4
	v_fma_f16 v180, v181, s9, v180
	v_add_f16_e32 v191, v192, v191
	s_movk_i32 s12, 0x34f2
	v_fma_f16 v178, v181, s14, v178
	v_fma_f16 v180, v191, s12, v180
	;; [unrolled: 1-line block ×3, first 2 shown]
	v_add_f16_e32 v191, v112, v102
	v_fma_f16 v191, v191, -0.5, v114
	v_fma_f16 v192, v181, s13, v191
	v_fma_f16 v181, v181, s8, v191
	v_pk_add_f16 v177, v114, v112
	v_fma_f16 v192, v179, s9, v192
	v_sub_f16_e32 v193, v100, v102
	v_sub_f16_e32 v194, v98, v112
	v_fma_f16 v179, v179, s14, v181
	v_add_f16_sdwa v181, v98, v100 dst_sel:DWORD dst_unused:UNUSED_PAD src0_sel:WORD_1 src1_sel:WORD_1
	v_lshrrev_b32_e32 v114, 16, v114
	v_add_f16_e32 v193, v194, v193
	v_fma_f16 v181, v181, -0.5, v114
	v_sub_f16_e32 v191, v112, v102
	v_fma_f16 v192, v193, s12, v192
	v_fma_f16 v179, v193, s12, v179
	;; [unrolled: 1-line block ×3, first 2 shown]
	v_sub_f16_e32 v194, v98, v100
	v_sub_f16_sdwa v195, v112, v98 dst_sel:DWORD dst_unused:UNUSED_PAD src0_sel:WORD_1 src1_sel:WORD_1
	v_sub_f16_sdwa v196, v102, v100 dst_sel:DWORD dst_unused:UNUSED_PAD src0_sel:WORD_1 src1_sel:WORD_1
	v_fma_f16 v181, v191, s8, v181
	v_fma_f16 v193, v194, s14, v193
	v_add_f16_e32 v195, v195, v196
	v_fma_f16 v181, v194, s9, v181
	v_fma_f16 v193, v195, s12, v193
	;; [unrolled: 1-line block ×3, first 2 shown]
	v_add_f16_sdwa v195, v112, v102 dst_sel:DWORD dst_unused:UNUSED_PAD src0_sel:WORD_1 src1_sel:WORD_1
	v_fma_f16 v114, v195, -0.5, v114
	v_fma_f16 v195, v194, s8, v114
	v_fma_f16 v114, v194, s13, v114
	;; [unrolled: 1-line block ×4, first 2 shown]
	v_add_f16_e32 v191, v81, v89
	v_sub_f16_sdwa v112, v98, v112 dst_sel:DWORD dst_unused:UNUSED_PAD src0_sel:WORD_1 src1_sel:WORD_1
	v_sub_f16_sdwa v196, v100, v102 dst_sel:DWORD dst_unused:UNUSED_PAD src0_sel:WORD_1 src1_sel:WORD_1
	v_fma_f16 v191, v191, -0.5, v111
	s_waitcnt lgkmcnt(5)
	v_sub_f16_sdwa v194, v109, v91 dst_sel:DWORD dst_unused:UNUSED_PAD src0_sel:WORD_1 src1_sel:WORD_1
	v_add_f16_e32 v112, v112, v196
	v_fma_f16 v196, v194, s8, v191
	v_sub_f16_sdwa v197, v81, v89 dst_sel:DWORD dst_unused:UNUSED_PAD src0_sel:WORD_1 src1_sel:WORD_1
	v_sub_f16_e32 v198, v91, v89
	v_sub_f16_e32 v199, v109, v81
	v_fma_f16 v191, v194, s13, v191
	v_fma_f16 v196, v197, s9, v196
	v_add_f16_e32 v198, v199, v198
	v_fma_f16 v191, v197, s14, v191
	v_fma_f16 v196, v198, s12, v196
	;; [unrolled: 1-line block ×3, first 2 shown]
	v_add_f16_e32 v198, v109, v91
	v_fma_f16 v198, v198, -0.5, v111
	v_fma_f16 v199, v197, s13, v198
	v_fma_f16 v197, v197, s8, v198
	;; [unrolled: 1-line block ×4, first 2 shown]
	v_pk_add_f16 v114, v111, v109
	v_fma_f16 v199, v194, s9, v199
	v_sub_f16_e32 v200, v89, v91
	v_sub_f16_e32 v201, v81, v109
	v_fma_f16 v194, v194, s14, v197
	v_add_f16_sdwa v197, v81, v89 dst_sel:DWORD dst_unused:UNUSED_PAD src0_sel:WORD_1 src1_sel:WORD_1
	v_lshrrev_b32_e32 v111, 16, v111
	v_add_f16_e32 v200, v201, v200
	v_fma_f16 v197, v197, -0.5, v111
	v_sub_f16_e32 v198, v109, v91
	v_fma_f16 v199, v200, s12, v199
	v_fma_f16 v194, v200, s12, v194
	;; [unrolled: 1-line block ×3, first 2 shown]
	v_sub_f16_e32 v201, v81, v89
	v_sub_f16_sdwa v202, v109, v81 dst_sel:DWORD dst_unused:UNUSED_PAD src0_sel:WORD_1 src1_sel:WORD_1
	v_sub_f16_sdwa v203, v91, v89 dst_sel:DWORD dst_unused:UNUSED_PAD src0_sel:WORD_1 src1_sel:WORD_1
	v_fma_f16 v197, v198, s8, v197
	v_fma_f16 v200, v201, s14, v200
	v_add_f16_e32 v202, v202, v203
	v_fma_f16 v197, v201, s9, v197
	v_fma_f16 v200, v202, s12, v200
	;; [unrolled: 1-line block ×3, first 2 shown]
	v_add_f16_sdwa v202, v109, v91 dst_sel:DWORD dst_unused:UNUSED_PAD src0_sel:WORD_1 src1_sel:WORD_1
	v_fma_f16 v111, v202, -0.5, v111
	v_fma_f16 v202, v201, s8, v111
	v_sub_f16_sdwa v109, v81, v109 dst_sel:DWORD dst_unused:UNUSED_PAD src0_sel:WORD_1 src1_sel:WORD_1
	v_sub_f16_sdwa v203, v89, v91 dst_sel:DWORD dst_unused:UNUSED_PAD src0_sel:WORD_1 src1_sel:WORD_1
	v_fma_f16 v111, v201, s13, v111
	v_fma_f16 v202, v198, s14, v202
	v_add_f16_e32 v109, v109, v203
	v_fma_f16 v111, v198, s9, v111
	v_fma_f16 v202, v109, s12, v202
	;; [unrolled: 1-line block ×3, first 2 shown]
	v_mul_f16_e32 v111, 0xb8b4, v200
	s_movk_i32 s15, 0x3a79
	v_mul_f16_e32 v204, 0xbb9c, v109
	v_mul_f16_e32 v206, 0xb8b4, v197
	s_mov_b32 s17, 0xba79
	v_mul_f16_e32 v109, 0xb4f2, v109
	v_mul_f16_e32 v197, 0xba79, v197
	v_fma_f16 v111, v196, s15, v111
	v_mul_f16_e32 v201, 0xbb9c, v202
	s_mov_b32 s16, 0xb4f2
	v_fma_f16 v206, v191, s17, v206
	v_mul_f16_e32 v196, 0x38b4, v196
	v_mul_f16_e32 v202, 0x34f2, v202
	v_fma_f16 v109, v194, s13, v109
	v_fma_f16 v191, v191, s14, v197
	;; [unrolled: 1-line block ×6, first 2 shown]
	v_add_f16_e32 v194, v112, v109
	v_add_f16_e32 v197, v181, v191
	v_sub_f16_e32 v109, v112, v109
	v_sub_f16_e32 v112, v181, v191
	v_add_f16_e32 v191, v99, v101
	v_add_f16_e32 v198, v180, v111
	;; [unrolled: 1-line block ×5, first 2 shown]
	v_sub_f16_e32 v111, v180, v111
	v_sub_f16_e32 v180, v192, v201
	;; [unrolled: 1-line block ×4, first 2 shown]
	v_fma_f16 v191, v191, -0.5, v115
	v_sub_f16_sdwa v195, v113, v103 dst_sel:DWORD dst_unused:UNUSED_PAD src0_sel:WORD_1 src1_sel:WORD_1
	v_add_f16_e32 v205, v179, v204
	v_sub_f16_e32 v179, v179, v204
	v_fma_f16 v196, v195, s8, v191
	v_sub_f16_sdwa v199, v99, v101 dst_sel:DWORD dst_unused:UNUSED_PAD src0_sel:WORD_1 src1_sel:WORD_1
	v_sub_f16_e32 v201, v103, v101
	v_sub_f16_e32 v204, v113, v99
	v_fma_f16 v191, v195, s13, v191
	v_fma_f16 v196, v199, s9, v196
	v_add_f16_e32 v201, v204, v201
	v_fma_f16 v191, v199, s14, v191
	v_fma_f16 v196, v201, s12, v196
	;; [unrolled: 1-line block ×3, first 2 shown]
	v_add_f16_e32 v201, v113, v103
	v_fma_f16 v201, v201, -0.5, v115
	v_fma_f16 v204, v199, s13, v201
	v_fma_f16 v199, v199, s8, v201
	v_add_f16_e32 v207, v178, v206
	v_sub_f16_e32 v178, v178, v206
	v_pk_add_f16 v181, v115, v113
	v_fma_f16 v204, v195, s9, v204
	v_sub_f16_e32 v206, v101, v103
	v_sub_f16_e32 v208, v99, v113
	v_fma_f16 v195, v195, s14, v199
	v_add_f16_sdwa v199, v99, v101 dst_sel:DWORD dst_unused:UNUSED_PAD src0_sel:WORD_1 src1_sel:WORD_1
	v_lshrrev_b32_e32 v115, 16, v115
	v_add_f16_e32 v206, v208, v206
	v_fma_f16 v199, v199, -0.5, v115
	v_sub_f16_e32 v201, v113, v103
	v_fma_f16 v204, v206, s12, v204
	v_fma_f16 v195, v206, s12, v195
	;; [unrolled: 1-line block ×3, first 2 shown]
	v_sub_f16_e32 v208, v99, v101
	v_sub_f16_sdwa v209, v113, v99 dst_sel:DWORD dst_unused:UNUSED_PAD src0_sel:WORD_1 src1_sel:WORD_1
	v_sub_f16_sdwa v210, v103, v101 dst_sel:DWORD dst_unused:UNUSED_PAD src0_sel:WORD_1 src1_sel:WORD_1
	v_fma_f16 v199, v201, s8, v199
	v_fma_f16 v206, v208, s14, v206
	v_add_f16_e32 v209, v209, v210
	v_fma_f16 v199, v208, s9, v199
	v_fma_f16 v206, v209, s12, v206
	;; [unrolled: 1-line block ×3, first 2 shown]
	v_add_f16_sdwa v209, v113, v103 dst_sel:DWORD dst_unused:UNUSED_PAD src0_sel:WORD_1 src1_sel:WORD_1
	v_fma_f16 v115, v209, -0.5, v115
	v_fma_f16 v209, v208, s8, v115
	v_fma_f16 v115, v208, s13, v115
	;; [unrolled: 1-line block ×4, first 2 shown]
	s_waitcnt lgkmcnt(1)
	v_add_f16_e32 v201, v92, v94
	v_sub_f16_sdwa v113, v99, v113 dst_sel:DWORD dst_unused:UNUSED_PAD src0_sel:WORD_1 src1_sel:WORD_1
	v_sub_f16_sdwa v210, v101, v103 dst_sel:DWORD dst_unused:UNUSED_PAD src0_sel:WORD_1 src1_sel:WORD_1
	v_fma_f16 v201, v201, -0.5, v106
	s_waitcnt lgkmcnt(0)
	v_sub_f16_sdwa v208, v104, v96 dst_sel:DWORD dst_unused:UNUSED_PAD src0_sel:WORD_1 src1_sel:WORD_1
	v_add_f16_e32 v113, v113, v210
	v_fma_f16 v210, v208, s8, v201
	v_sub_f16_sdwa v211, v92, v94 dst_sel:DWORD dst_unused:UNUSED_PAD src0_sel:WORD_1 src1_sel:WORD_1
	v_sub_f16_e32 v212, v96, v94
	v_sub_f16_e32 v213, v104, v92
	v_fma_f16 v201, v208, s13, v201
	v_fma_f16 v210, v211, s9, v210
	v_add_f16_e32 v212, v213, v212
	v_fma_f16 v201, v211, s14, v201
	v_fma_f16 v210, v212, s12, v210
	;; [unrolled: 1-line block ×3, first 2 shown]
	v_add_f16_e32 v212, v104, v96
	v_fma_f16 v212, v212, -0.5, v106
	v_fma_f16 v213, v211, s13, v212
	v_fma_f16 v211, v211, s8, v212
	;; [unrolled: 1-line block ×4, first 2 shown]
	v_pk_add_f16 v115, v106, v104
	v_fma_f16 v213, v208, s9, v213
	v_sub_f16_e32 v214, v94, v96
	v_sub_f16_e32 v215, v92, v104
	v_fma_f16 v208, v208, s14, v211
	v_add_f16_sdwa v211, v92, v94 dst_sel:DWORD dst_unused:UNUSED_PAD src0_sel:WORD_1 src1_sel:WORD_1
	v_lshrrev_b32_e32 v106, 16, v106
	v_add_f16_e32 v214, v215, v214
	v_fma_f16 v211, v211, -0.5, v106
	v_sub_f16_e32 v212, v104, v96
	v_fma_f16 v213, v214, s12, v213
	v_fma_f16 v208, v214, s12, v208
	;; [unrolled: 1-line block ×3, first 2 shown]
	v_sub_f16_e32 v215, v92, v94
	v_sub_f16_sdwa v216, v104, v92 dst_sel:DWORD dst_unused:UNUSED_PAD src0_sel:WORD_1 src1_sel:WORD_1
	v_sub_f16_sdwa v217, v96, v94 dst_sel:DWORD dst_unused:UNUSED_PAD src0_sel:WORD_1 src1_sel:WORD_1
	v_fma_f16 v211, v212, s8, v211
	v_fma_f16 v214, v215, s14, v214
	v_add_f16_e32 v216, v216, v217
	v_fma_f16 v211, v215, s9, v211
	v_fma_f16 v214, v216, s12, v214
	;; [unrolled: 1-line block ×3, first 2 shown]
	v_add_f16_sdwa v216, v104, v96 dst_sel:DWORD dst_unused:UNUSED_PAD src0_sel:WORD_1 src1_sel:WORD_1
	v_fma_f16 v106, v216, -0.5, v106
	v_fma_f16 v216, v215, s8, v106
	v_sub_f16_sdwa v104, v92, v104 dst_sel:DWORD dst_unused:UNUSED_PAD src0_sel:WORD_1 src1_sel:WORD_1
	v_sub_f16_sdwa v217, v94, v96 dst_sel:DWORD dst_unused:UNUSED_PAD src0_sel:WORD_1 src1_sel:WORD_1
	v_fma_f16 v106, v215, s13, v106
	v_fma_f16 v216, v212, s14, v216
	v_add_f16_e32 v104, v104, v217
	v_fma_f16 v106, v212, s9, v106
	v_fma_f16 v216, v104, s12, v216
	;; [unrolled: 1-line block ×3, first 2 shown]
	v_mul_f16_e32 v218, 0xbb9c, v104
	v_mul_f16_e32 v104, 0xb4f2, v104
	;; [unrolled: 1-line block ×3, first 2 shown]
	v_fma_f16 v104, v208, s13, v104
	v_fma_f16 v106, v210, s15, v106
	v_mul_f16_e32 v215, 0xbb9c, v216
	v_fma_f16 v218, v208, s16, v218
	v_mul_f16_e32 v210, 0x38b4, v210
	v_mul_f16_e32 v216, 0x34f2, v216
	v_add_f16_e32 v208, v113, v104
	v_sub_f16_e32 v113, v113, v104
	v_add_f16_e32 v104, v80, v88
	v_add_f16_e32 v212, v196, v106
	v_fma_f16 v215, v213, s12, v215
	v_fma_f16 v210, v214, s15, v210
	;; [unrolled: 1-line block ×3, first 2 shown]
	v_sub_f16_e32 v196, v196, v106
	v_fma_f16 v104, v104, -0.5, v110
	v_sub_f16_sdwa v106, v108, v90 dst_sel:DWORD dst_unused:UNUSED_PAD src0_sel:WORD_1 src1_sel:WORD_1
	v_add_f16_e32 v217, v204, v215
	v_add_f16_e32 v219, v195, v218
	;; [unrolled: 1-line block ×4, first 2 shown]
	v_sub_f16_e32 v204, v204, v215
	v_sub_f16_e32 v195, v195, v218
	;; [unrolled: 1-line block ×4, first 2 shown]
	v_fma_f16 v210, v106, s8, v104
	v_sub_f16_sdwa v213, v80, v88 dst_sel:DWORD dst_unused:UNUSED_PAD src0_sel:WORD_1 src1_sel:WORD_1
	v_sub_f16_e32 v215, v90, v88
	v_sub_f16_e32 v218, v108, v80
	v_fma_f16 v104, v106, s13, v104
	v_fma_f16 v210, v213, s9, v210
	v_add_f16_e32 v215, v218, v215
	v_fma_f16 v104, v213, s14, v104
	v_fma_f16 v210, v215, s12, v210
	;; [unrolled: 1-line block ×3, first 2 shown]
	v_add_f16_e32 v215, v108, v90
	v_mul_f16_e32 v220, 0xb8b4, v211
	v_mul_f16_e32 v211, 0xba79, v211
	v_fma_f16 v215, v215, -0.5, v110
	v_fma_f16 v220, v201, s17, v220
	v_fma_f16 v201, v201, s14, v211
	;; [unrolled: 1-line block ×4, first 2 shown]
	v_add_f16_e32 v221, v191, v220
	v_add_f16_e32 v211, v199, v201
	v_sub_f16_e32 v191, v191, v220
	v_sub_f16_e32 v199, v199, v201
	v_pk_add_f16 v201, v110, v108
	v_fma_f16 v218, v106, s9, v218
	v_sub_f16_e32 v220, v88, v90
	v_sub_f16_e32 v222, v80, v108
	v_fma_f16 v106, v106, s14, v213
	v_add_f16_sdwa v213, v80, v88 dst_sel:DWORD dst_unused:UNUSED_PAD src0_sel:WORD_1 src1_sel:WORD_1
	v_lshrrev_b32_e32 v110, 16, v110
	v_add_f16_e32 v220, v222, v220
	v_fma_f16 v213, v213, -0.5, v110
	v_sub_f16_e32 v215, v108, v90
	v_fma_f16 v218, v220, s12, v218
	v_fma_f16 v106, v220, s12, v106
	;; [unrolled: 1-line block ×3, first 2 shown]
	v_sub_f16_e32 v222, v80, v88
	v_sub_f16_sdwa v223, v108, v80 dst_sel:DWORD dst_unused:UNUSED_PAD src0_sel:WORD_1 src1_sel:WORD_1
	v_sub_f16_sdwa v224, v90, v88 dst_sel:DWORD dst_unused:UNUSED_PAD src0_sel:WORD_1 src1_sel:WORD_1
	v_fma_f16 v213, v215, s8, v213
	v_fma_f16 v220, v222, s14, v220
	v_add_f16_e32 v223, v223, v224
	v_fma_f16 v213, v222, s9, v213
	v_fma_f16 v220, v223, s12, v220
	;; [unrolled: 1-line block ×3, first 2 shown]
	v_add_f16_sdwa v223, v108, v90 dst_sel:DWORD dst_unused:UNUSED_PAD src0_sel:WORD_1 src1_sel:WORD_1
	v_fma_f16 v110, v223, -0.5, v110
	v_fma_f16 v223, v222, s8, v110
	v_fma_f16 v110, v222, s13, v110
	;; [unrolled: 1-line block ×4, first 2 shown]
	v_add_f16_e32 v215, v93, v95
	v_sub_f16_sdwa v108, v80, v108 dst_sel:DWORD dst_unused:UNUSED_PAD src0_sel:WORD_1 src1_sel:WORD_1
	v_sub_f16_sdwa v224, v88, v90 dst_sel:DWORD dst_unused:UNUSED_PAD src0_sel:WORD_1 src1_sel:WORD_1
	v_fma_f16 v215, v215, -0.5, v107
	v_sub_f16_sdwa v222, v105, v97 dst_sel:DWORD dst_unused:UNUSED_PAD src0_sel:WORD_1 src1_sel:WORD_1
	v_add_f16_e32 v108, v108, v224
	v_fma_f16 v224, v222, s8, v215
	v_sub_f16_sdwa v225, v93, v95 dst_sel:DWORD dst_unused:UNUSED_PAD src0_sel:WORD_1 src1_sel:WORD_1
	v_sub_f16_e32 v226, v97, v95
	v_sub_f16_e32 v227, v105, v93
	v_fma_f16 v215, v222, s13, v215
	v_fma_f16 v224, v225, s9, v224
	v_add_f16_e32 v226, v227, v226
	v_fma_f16 v215, v225, s14, v215
	v_fma_f16 v224, v226, s12, v224
	;; [unrolled: 1-line block ×3, first 2 shown]
	v_add_f16_e32 v226, v105, v97
	v_fma_f16 v226, v226, -0.5, v107
	v_fma_f16 v227, v225, s13, v226
	v_fma_f16 v225, v225, s8, v226
	;; [unrolled: 1-line block ×4, first 2 shown]
	v_pk_add_f16 v110, v107, v105
	v_fma_f16 v227, v222, s9, v227
	v_sub_f16_e32 v228, v95, v97
	v_sub_f16_e32 v229, v93, v105
	v_fma_f16 v222, v222, s14, v225
	v_add_f16_sdwa v225, v93, v95 dst_sel:DWORD dst_unused:UNUSED_PAD src0_sel:WORD_1 src1_sel:WORD_1
	v_lshrrev_b32_e32 v107, 16, v107
	v_add_f16_e32 v228, v229, v228
	v_fma_f16 v225, v225, -0.5, v107
	v_sub_f16_e32 v226, v105, v97
	v_fma_f16 v227, v228, s12, v227
	v_fma_f16 v222, v228, s12, v222
	;; [unrolled: 1-line block ×3, first 2 shown]
	v_sub_f16_e32 v229, v93, v95
	v_sub_f16_sdwa v230, v105, v93 dst_sel:DWORD dst_unused:UNUSED_PAD src0_sel:WORD_1 src1_sel:WORD_1
	v_sub_f16_sdwa v231, v97, v95 dst_sel:DWORD dst_unused:UNUSED_PAD src0_sel:WORD_1 src1_sel:WORD_1
	v_fma_f16 v225, v226, s8, v225
	v_fma_f16 v228, v229, s14, v228
	v_add_f16_e32 v230, v230, v231
	v_fma_f16 v225, v229, s9, v225
	v_fma_f16 v228, v230, s12, v228
	;; [unrolled: 1-line block ×3, first 2 shown]
	v_add_f16_sdwa v230, v105, v97 dst_sel:DWORD dst_unused:UNUSED_PAD src0_sel:WORD_1 src1_sel:WORD_1
	v_fma_f16 v107, v230, -0.5, v107
	v_fma_f16 v230, v229, s8, v107
	v_sub_f16_sdwa v105, v93, v105 dst_sel:DWORD dst_unused:UNUSED_PAD src0_sel:WORD_1 src1_sel:WORD_1
	v_sub_f16_sdwa v231, v95, v97 dst_sel:DWORD dst_unused:UNUSED_PAD src0_sel:WORD_1 src1_sel:WORD_1
	v_fma_f16 v107, v229, s13, v107
	v_fma_f16 v230, v226, s14, v230
	v_add_f16_e32 v105, v105, v231
	v_fma_f16 v107, v226, s9, v107
	v_fma_f16 v230, v105, s12, v230
	;; [unrolled: 1-line block ×3, first 2 shown]
	v_pk_add_f16 v98, v177, v98
	v_pk_add_f16 v81, v114, v81
	v_mul_f16_e32 v107, 0xb8b4, v228
	v_mul_f16_e32 v229, 0xbb9c, v230
	;; [unrolled: 1-line block ×5, first 2 shown]
	v_pk_add_f16 v98, v98, v100
	v_pk_add_f16 v81, v81, v89
	v_fma_f16 v107, v224, s15, v107
	v_fma_f16 v229, v227, s12, v229
	;; [unrolled: 1-line block ×5, first 2 shown]
	v_pk_add_f16 v98, v98, v102
	v_pk_add_f16 v81, v81, v91
	v_add_f16_e32 v226, v210, v107
	v_add_f16_e32 v231, v218, v229
	;; [unrolled: 1-line block ×5, first 2 shown]
	v_sub_f16_e32 v210, v210, v107
	v_sub_f16_e32 v218, v218, v229
	;; [unrolled: 1-line block ×5, first 2 shown]
	v_pk_add_f16 v104, v98, v81
	v_pack_b32_f16 v107, v205, v194
	v_pack_b32_f16 v106, v203, v202
	;; [unrolled: 1-line block ×3, first 2 shown]
	s_waitcnt lgkmcnt(0)
	; wave barrier
	ds_write2_b64 v151, v[104:105], v[106:107] offset1:1
	v_pk_add_f16 v105, v98, v81 neg_lo:[0,1] neg_hi:[0,1]
	v_pk_add_f16 v81, v181, v99
	v_pk_add_f16 v89, v115, v92
	;; [unrolled: 1-line block ×6, first 2 shown]
	v_mul_f16_e32 v224, 0x38b4, v224
	v_mul_f16_e32 v230, 0x34f2, v230
	v_pack_b32_f16 v107, v180, v193
	v_pack_b32_f16 v106, v111, v192
	;; [unrolled: 1-line block ×3, first 2 shown]
	v_pk_add_f16 v81, v81, v103
	v_pk_add_f16 v89, v89, v96
	;; [unrolled: 1-line block ×4, first 2 shown]
	v_fma_f16 v224, v228, s15, v224
	v_fma_f16 v227, v227, s13, v230
	v_mul_f16_e32 v225, 0xba79, v225
	ds_write2_b64 v151, v[104:105], v[106:107] offset0:2 offset1:3
	v_pack_b32_f16 v105, v178, v112
	v_pack_b32_f16 v104, v179, v109
	v_pk_add_f16 v98, v81, v89
	v_pack_b32_f16 v101, v219, v208
	v_pack_b32_f16 v100, v217, v216
	;; [unrolled: 1-line block ×3, first 2 shown]
	v_pk_add_f16 v80, v80, v95
	v_add_f16_e32 v228, v220, v224
	v_add_f16_e32 v230, v223, v227
	v_fma_f16 v215, v215, s14, v225
	ds_write_b64 v151, v[104:105] offset:32
	ds_write2_b64 v156, v[98:99], v[100:101] offset1:1
	v_pk_add_f16 v99, v81, v89 neg_lo:[0,1] neg_hi:[0,1]
	v_pack_b32_f16 v101, v204, v209
	v_pack_b32_f16 v100, v196, v206
	;; [unrolled: 1-line block ×3, first 2 shown]
	v_pk_add_f16 v91, v80, v97
	v_add_f16_e32 v225, v213, v215
	v_sub_f16_e32 v220, v220, v224
	v_sub_f16_e32 v223, v223, v227
	ds_write2_b64 v156, v[98:99], v[100:101] offset0:2 offset1:3
	v_pack_b32_f16 v99, v191, v199
	v_pack_b32_f16 v98, v195, v113
	v_pk_add_f16 v80, v90, v91
	v_pack_b32_f16 v89, v233, v222
	v_pack_b32_f16 v88, v231, v230
	;; [unrolled: 1-line block ×3, first 2 shown]
	v_sub_f16_e32 v213, v213, v215
	ds_write_b64 v156, v[98:99] offset:32
	ds_write2_b64 v157, v[80:81], v[88:89] offset1:1
	v_pk_add_f16 v81, v90, v91 neg_lo:[0,1] neg_hi:[0,1]
	v_pack_b32_f16 v89, v218, v223
	v_pack_b32_f16 v88, v210, v220
	;; [unrolled: 1-line block ×3, first 2 shown]
	ds_write2_b64 v157, v[80:81], v[88:89] offset0:2 offset1:3
	v_pack_b32_f16 v81, v232, v213
	v_pack_b32_f16 v80, v229, v108
	ds_write_b64 v157, v[80:81] offset:32
	s_and_saveexec_b64 s[0:1], s[2:3]
	s_cbranch_execz .LBB0_13
; %bb.12:
	v_sub_f16_e32 v80, v185, v189
	v_sub_f16_e32 v81, v148, v146
	v_add_f16_e32 v80, v80, v81
	v_add_f16_e32 v81, v189, v146
	v_sub_f16_e32 v96, v188, v190
	v_sub_f16_e32 v97, v150, v149
	v_sub_f16_e32 v103, v189, v185
	v_sub_f16_e32 v104, v146, v148
	v_fma_f16 v81, v81, -0.5, v187
	v_sub_f16_e32 v88, v84, v78
	v_add_f16_e32 v96, v96, v97
	v_add_f16_e32 v97, v190, v149
	;; [unrolled: 1-line block ×4, first 2 shown]
	v_fma_f16 v89, v88, s8, v81
	v_sub_f16_e32 v90, v86, v76
	v_fma_f16 v97, v97, -0.5, v186
	v_sub_f16_e32 v98, v85, v79
	v_fma_f16 v104, v104, -0.5, v187
	v_fma_f16 v81, v88, s13, v81
	v_fma_f16 v89, v90, s9, v89
	;; [unrolled: 1-line block ×3, first 2 shown]
	v_sub_f16_e32 v100, v87, v77
	v_fma_f16 v105, v90, s13, v104
	v_fma_f16 v104, v90, s8, v104
	v_fma_f16 v81, v90, s14, v81
	v_fma_f16 v90, v98, s13, v97
	v_fma_f16 v99, v100, s9, v99
	v_sub_f16_e32 v106, v87, v85
	v_sub_f16_e32 v107, v77, v79
	v_fma_f16 v90, v100, s14, v90
	v_sub_f16_e32 v91, v85, v87
	v_sub_f16_e32 v92, v79, v77
	v_fma_f16 v99, v96, s12, v99
	v_add_f16_e32 v106, v106, v107
	v_add_f16_e32 v107, v85, v79
	v_fma_f16 v90, v96, s12, v90
	v_sub_f16_e32 v96, v84, v86
	v_sub_f16_e32 v97, v78, v76
	;; [unrolled: 1-line block ×4, first 2 shown]
	v_add_f16_e32 v91, v91, v92
	v_add_f16_e32 v92, v87, v77
	v_sub_f16_e32 v95, v190, v149
	v_fma_f16 v105, v88, s9, v105
	v_fma_f16 v107, v107, -0.5, v83
	v_sub_f16_e32 v109, v190, v188
	v_sub_f16_e32 v110, v149, v150
	v_fma_f16 v104, v88, s14, v104
	v_add_f16_e32 v96, v96, v97
	v_add_f16_e32 v97, v86, v76
	v_add_f16_e32 v114, v114, v115
	v_add_f16_e32 v115, v84, v78
	v_fma_f16 v92, v92, -0.5, v83
	v_sub_f16_e32 v93, v188, v150
	v_fma_f16 v105, v103, s12, v105
	v_fma_f16 v108, v95, s8, v107
	v_add_f16_e32 v109, v109, v110
	v_add_f16_e32 v110, v188, v150
	v_fma_f16 v103, v103, s12, v104
	v_fma_f16 v104, v95, s13, v107
	v_fma_f16 v97, v97, -0.5, v82
	v_fma_f16 v115, v115, -0.5, v82
	v_add_f16_e32 v82, v82, v84
	v_fma_f16 v89, v80, s12, v89
	v_fma_f16 v108, v93, s14, v108
	v_fma_f16 v110, v110, -0.5, v186
	v_fma_f16 v104, v93, s9, v104
	v_fma_f16 v80, v80, s12, v81
	;; [unrolled: 1-line block ×3, first 2 shown]
	v_add_f16_e32 v82, v82, v86
	v_fma_f16 v94, v93, s13, v92
	v_fma_f16 v108, v106, s12, v108
	v_fma_f16 v111, v100, s13, v110
	v_fma_f16 v104, v106, s12, v104
	v_fma_f16 v106, v100, s8, v110
	v_fma_f16 v81, v95, s9, v81
	v_add_f16_e32 v92, v187, v185
	v_add_f16_e32 v76, v82, v76
	v_fma_f16 v111, v98, s9, v111
	v_fma_f16 v106, v98, s14, v106
	v_fma_f16 v81, v91, s12, v81
	v_add_f16_e32 v92, v92, v189
	v_add_f16_e32 v93, v186, v188
	v_sub_f16_e32 v98, v185, v148
	v_sub_f16_e32 v110, v189, v146
	v_add_f16_e32 v76, v76, v78
	v_add_f16_e32 v78, v83, v85
	v_fma_f16 v111, v109, s12, v111
	v_fma_f16 v106, v109, s12, v106
	v_mul_f16_e32 v88, 0x38b4, v81
	v_add_f16_e32 v92, v92, v146
	v_add_f16_e32 v93, v93, v190
	v_fma_f16 v100, v98, s13, v97
	v_fma_f16 v146, v110, s8, v115
	v_fma_f16 v115, v110, s13, v115
	v_fma_f16 v97, v98, s8, v97
	v_add_f16_e32 v78, v78, v87
	v_fma_f16 v94, v95, s14, v94
	v_mul_f16_e32 v112, 0xb4f2, v111
	v_mul_f16_e32 v107, 0x34f2, v106
	v_fma_f16 v88, v90, s15, v88
	v_add_f16_e32 v93, v93, v149
	v_fma_f16 v100, v110, s14, v100
	v_fma_f16 v146, v98, s14, v146
	v_mul_f16_e32 v111, 0xbb9c, v111
	v_fma_f16 v115, v98, s9, v115
	v_mul_f16_e32 v106, 0xbb9c, v106
	;; [unrolled: 2-line block ×3, first 2 shown]
	v_add_f16_e32 v77, v78, v77
	v_fma_f16 v94, v91, s12, v94
	v_mul_f16_e32 v101, 0xba79, v99
	v_fma_f16 v112, v108, s13, v112
	v_fma_f16 v107, v104, s13, v107
	v_add_f16_e32 v92, v92, v148
	v_add_f16_e32 v93, v93, v150
	v_fma_f16 v100, v96, s12, v100
	v_mul_f16_e32 v99, 0xb8b4, v99
	v_fma_f16 v146, v114, s12, v146
	v_fma_f16 v108, v108, s16, v111
	;; [unrolled: 1-line block ×6, first 2 shown]
	v_add_f16_e32 v77, v77, v79
	v_fma_f16 v101, v94, s14, v101
	v_sub_f16_e32 v91, v80, v88
	v_fma_f16 v94, v94, s17, v99
	v_sub_f16_e32 v90, v96, v81
	v_add_f16_e32 v78, v105, v112
	v_add_f16_e32 v79, v103, v107
	;; [unrolled: 1-line block ×8, first 2 shown]
	v_sub_f16_e32 v109, v103, v107
	v_sub_f16_e32 v95, v92, v93
	;; [unrolled: 1-line block ×4, first 2 shown]
	v_add_f16_e32 v83, v89, v101
	v_add_f16_e32 v85, v100, v94
	v_lshlrev_b32_e32 v73, 2, v73
	v_pack_b32_f16 v77, v86, v78
	v_pack_b32_f16 v76, v87, v79
	;; [unrolled: 1-line block ×4, first 2 shown]
	v_sub_f16_e32 v102, v89, v101
	v_sub_f16_e32 v113, v105, v112
	;; [unrolled: 1-line block ×4, first 2 shown]
	ds_write2_b64 v73, v[78:79], v[76:77] offset1:1
	v_pack_b32_f16 v77, v106, v109
	v_pack_b32_f16 v76, v90, v91
	;; [unrolled: 1-line block ×4, first 2 shown]
	ds_write2_b64 v73, v[78:79], v[76:77] offset0:2 offset1:3
	v_pack_b32_f16 v77, v99, v102
	v_pack_b32_f16 v76, v111, v113
	ds_write_b64 v73, v[76:77] offset:32
.LBB0_13:
	s_or_b64 exec, exec, s[0:1]
	v_add_u32_e32 v85, 0x400, v68
	s_waitcnt lgkmcnt(0)
	; wave barrier
	s_waitcnt lgkmcnt(0)
	ds_read2_b32 v[92:93], v85 offset0:104 offset1:164
	v_add_u32_e32 v84, 0xa00, v68
	ds_read2_b32 v[94:95], v84 offset0:80 offset1:140
	v_add_u32_e32 v73, 0x1000, v68
	ds_read2_b32 v[96:97], v73 offset0:56 offset1:116
	v_add_u32_e32 v87, 0x1400, v68
	s_waitcnt lgkmcnt(2)
	v_lshrrev_b32_e32 v177, 16, v92
	ds_read2_b32 v[98:99], v87 offset0:160 offset1:220
	v_mul_f16_sdwa v215, v0, v177 dst_sel:DWORD dst_unused:UNUSED_PAD src0_sel:WORD_1 src1_sel:DWORD
	v_add_u32_e32 v86, 0x1c00, v68
	s_waitcnt lgkmcnt(2)
	v_lshrrev_b32_e32 v178, 16, v94
	v_fma_f16 v215, v0, v92, v215
	v_mul_f16_sdwa v92, v0, v92 dst_sel:DWORD dst_unused:UNUSED_PAD src0_sel:WORD_1 src1_sel:DWORD
	ds_read2_b32 v[100:101], v86 offset0:8 offset1:68
	v_fma_f16 v0, v0, v177, -v92
	v_mul_f16_sdwa v92, v1, v178 dst_sel:DWORD dst_unused:UNUSED_PAD src0_sel:WORD_1 src1_sel:DWORD
	s_waitcnt lgkmcnt(2)
	v_lshrrev_b32_e32 v179, 16, v96
	v_fma_f16 v92, v1, v94, v92
	v_mul_f16_sdwa v94, v1, v94 dst_sel:DWORD dst_unused:UNUSED_PAD src0_sel:WORD_1 src1_sel:DWORD
	v_fma_f16 v1, v1, v178, -v94
	v_mul_f16_sdwa v94, v2, v179 dst_sel:DWORD dst_unused:UNUSED_PAD src0_sel:WORD_1 src1_sel:DWORD
	s_waitcnt lgkmcnt(1)
	v_lshrrev_b32_e32 v180, 16, v98
	v_fma_f16 v94, v2, v96, v94
	v_mul_f16_sdwa v96, v2, v96 dst_sel:DWORD dst_unused:UNUSED_PAD src0_sel:WORD_1 src1_sel:DWORD
	;; [unrolled: 6-line block ×3, first 2 shown]
	v_fma_f16 v3, v3, v180, -v98
	v_mul_f16_sdwa v98, v147, v181 dst_sel:DWORD dst_unused:UNUSED_PAD src0_sel:WORD_1 src1_sel:DWORD
	v_lshrrev_b32_e32 v186, 16, v93
	v_fma_f16 v98, v147, v100, v98
	v_mul_f16_sdwa v100, v147, v100 dst_sel:DWORD dst_unused:UNUSED_PAD src0_sel:WORD_1 src1_sel:DWORD
	v_fma_f16 v100, v147, v181, -v100
	v_mul_f16_sdwa v147, v4, v186 dst_sel:DWORD dst_unused:UNUSED_PAD src0_sel:WORD_1 src1_sel:DWORD
	v_lshrrev_b32_e32 v187, 16, v95
	v_fma_f16 v147, v4, v93, v147
	v_mul_f16_sdwa v93, v4, v93 dst_sel:DWORD dst_unused:UNUSED_PAD src0_sel:WORD_1 src1_sel:DWORD
	v_fma_f16 v4, v4, v186, -v93
	v_mul_f16_sdwa v93, v5, v187 dst_sel:DWORD dst_unused:UNUSED_PAD src0_sel:WORD_1 src1_sel:DWORD
	v_lshrrev_b32_e32 v188, 16, v97
	v_add_u32_e32 v91, 0x600, v68
	v_fma_f16 v93, v5, v95, v93
	v_mul_f16_sdwa v95, v5, v95 dst_sel:DWORD dst_unused:UNUSED_PAD src0_sel:WORD_1 src1_sel:DWORD
	ds_read2_b32 v[102:103], v91 offset0:96 offset1:156
	v_fma_f16 v5, v5, v187, -v95
	v_mul_f16_sdwa v95, v6, v188 dst_sel:DWORD dst_unused:UNUSED_PAD src0_sel:WORD_1 src1_sel:DWORD
	v_lshrrev_b32_e32 v189, 16, v99
	v_fma_f16 v95, v6, v97, v95
	v_mul_f16_sdwa v97, v6, v97 dst_sel:DWORD dst_unused:UNUSED_PAD src0_sel:WORD_1 src1_sel:DWORD
	v_add_u32_e32 v88, 0xc00, v68
	v_fma_f16 v6, v6, v188, -v97
	v_mul_f16_sdwa v97, v7, v189 dst_sel:DWORD dst_unused:UNUSED_PAD src0_sel:WORD_1 src1_sel:DWORD
	ds_read2_b32 v[80:81], v68 offset1:60
	ds_read2_b32 v[78:79], v68 offset0:120 offset1:180
	v_lshrrev_b32_e32 v190, 16, v101
	ds_read2_b32 v[104:105], v88 offset0:72 offset1:132
	ds_read2_b32 v[106:107], v73 offset0:176 offset1:236
	v_fma_f16 v97, v7, v99, v97
	v_mul_f16_sdwa v99, v7, v99 dst_sel:DWORD dst_unused:UNUSED_PAD src0_sel:WORD_1 src1_sel:DWORD
	v_fma_f16 v7, v7, v189, -v99
	v_mul_f16_sdwa v99, v152, v190 dst_sel:DWORD dst_unused:UNUSED_PAD src0_sel:WORD_1 src1_sel:DWORD
	s_waitcnt lgkmcnt(4)
	v_lshrrev_b32_e32 v192, 16, v102
	v_fma_f16 v99, v152, v101, v99
	v_mul_f16_sdwa v101, v152, v101 dst_sel:DWORD dst_unused:UNUSED_PAD src0_sel:WORD_1 src1_sel:DWORD
	v_add_u32_e32 v83, 0x1800, v68
	v_fma_f16 v101, v152, v190, -v101
	v_mul_f16_sdwa v152, v8, v192 dst_sel:DWORD dst_unused:UNUSED_PAD src0_sel:WORD_1 src1_sel:DWORD
	ds_read2_b32 v[108:109], v83 offset0:24 offset1:84
	ds_read2_b32 v[110:111], v86 offset0:128 offset1:188
	s_waitcnt lgkmcnt(3)
	v_lshrrev_b32_e32 v193, 16, v104
	v_fma_f16 v152, v8, v102, v152
	v_mul_f16_sdwa v102, v8, v102 dst_sel:DWORD dst_unused:UNUSED_PAD src0_sel:WORD_1 src1_sel:DWORD
	v_fma_f16 v8, v8, v192, -v102
	v_mul_f16_sdwa v102, v9, v193 dst_sel:DWORD dst_unused:UNUSED_PAD src0_sel:WORD_1 src1_sel:DWORD
	s_waitcnt lgkmcnt(2)
	v_lshrrev_b32_e32 v194, 16, v106
	v_fma_f16 v102, v9, v104, v102
	v_mul_f16_sdwa v104, v9, v104 dst_sel:DWORD dst_unused:UNUSED_PAD src0_sel:WORD_1 src1_sel:DWORD
	v_fma_f16 v9, v9, v193, -v104
	v_mul_f16_sdwa v104, v10, v194 dst_sel:DWORD dst_unused:UNUSED_PAD src0_sel:WORD_1 src1_sel:DWORD
	s_waitcnt lgkmcnt(1)
	v_lshrrev_b32_e32 v195, 16, v108
	v_fma_f16 v104, v10, v106, v104
	v_mul_f16_sdwa v106, v10, v106 dst_sel:DWORD dst_unused:UNUSED_PAD src0_sel:WORD_1 src1_sel:DWORD
	v_fma_f16 v10, v10, v194, -v106
	v_mul_f16_sdwa v106, v11, v195 dst_sel:DWORD dst_unused:UNUSED_PAD src0_sel:WORD_1 src1_sel:DWORD
	s_waitcnt lgkmcnt(0)
	v_lshrrev_b32_e32 v196, 16, v110
	v_fma_f16 v106, v11, v108, v106
	v_mul_f16_sdwa v108, v11, v108 dst_sel:DWORD dst_unused:UNUSED_PAD src0_sel:WORD_1 src1_sel:DWORD
	v_fma_f16 v11, v11, v195, -v108
	v_mul_f16_sdwa v108, v153, v196 dst_sel:DWORD dst_unused:UNUSED_PAD src0_sel:WORD_1 src1_sel:DWORD
	v_lshrrev_b32_e32 v198, 16, v103
	v_fma_f16 v108, v153, v110, v108
	v_mul_f16_sdwa v110, v153, v110 dst_sel:DWORD dst_unused:UNUSED_PAD src0_sel:WORD_1 src1_sel:DWORD
	v_fma_f16 v110, v153, v196, -v110
	v_mul_f16_sdwa v153, v12, v198 dst_sel:DWORD dst_unused:UNUSED_PAD src0_sel:WORD_1 src1_sel:DWORD
	v_lshrrev_b32_e32 v199, 16, v105
	v_fma_f16 v153, v12, v103, v153
	v_mul_f16_sdwa v103, v12, v103 dst_sel:DWORD dst_unused:UNUSED_PAD src0_sel:WORD_1 src1_sel:DWORD
	v_fma_f16 v12, v12, v198, -v103
	v_mul_f16_sdwa v103, v13, v199 dst_sel:DWORD dst_unused:UNUSED_PAD src0_sel:WORD_1 src1_sel:DWORD
	;; [unrolled: 5-line block ×3, first 2 shown]
	v_lshrrev_b32_e32 v201, 16, v109
	v_fma_f16 v105, v14, v107, v105
	v_mul_f16_sdwa v107, v14, v107 dst_sel:DWORD dst_unused:UNUSED_PAD src0_sel:WORD_1 src1_sel:DWORD
	v_add_u32_e32 v90, 0x200, v68
	v_add_u32_e32 v89, 0x800, v68
	v_fma_f16 v14, v14, v200, -v107
	v_mul_f16_sdwa v107, v15, v201 dst_sel:DWORD dst_unused:UNUSED_PAD src0_sel:WORD_1 src1_sel:DWORD
	ds_read2_b32 v[76:77], v90 offset0:112 offset1:172
	v_lshrrev_b32_e32 v202, 16, v111
	ds_read2_b32 v[112:113], v89 offset0:88 offset1:148
	ds_read2_b32 v[114:115], v88 offset0:192 offset1:252
	ds_read2_b32 v[148:149], v87 offset0:40 offset1:100
	ds_read2_b32 v[150:151], v83 offset0:144 offset1:204
	v_fma_f16 v107, v15, v109, v107
	v_mul_f16_sdwa v109, v15, v109 dst_sel:DWORD dst_unused:UNUSED_PAD src0_sel:WORD_1 src1_sel:DWORD
	v_fma_f16 v15, v15, v201, -v109
	v_mul_f16_sdwa v109, v154, v202 dst_sel:DWORD dst_unused:UNUSED_PAD src0_sel:WORD_1 src1_sel:DWORD
	s_waitcnt lgkmcnt(3)
	v_lshrrev_b32_e32 v204, 16, v112
	v_fma_f16 v109, v154, v111, v109
	v_mul_f16_sdwa v111, v154, v111 dst_sel:DWORD dst_unused:UNUSED_PAD src0_sel:WORD_1 src1_sel:DWORD
	v_fma_f16 v111, v154, v202, -v111
	v_mul_f16_sdwa v154, v16, v204 dst_sel:DWORD dst_unused:UNUSED_PAD src0_sel:WORD_1 src1_sel:DWORD
	v_add_u32_e32 v82, 0x1e00, v68
	s_waitcnt lgkmcnt(2)
	v_lshrrev_b32_e32 v205, 16, v114
	v_fma_f16 v154, v16, v112, v154
	v_mul_f16_sdwa v112, v16, v112 dst_sel:DWORD dst_unused:UNUSED_PAD src0_sel:WORD_1 src1_sel:DWORD
	ds_read2_b32 v[156:157], v82 offset0:120 offset1:180
	v_fma_f16 v16, v16, v204, -v112
	v_mul_f16_sdwa v112, v17, v205 dst_sel:DWORD dst_unused:UNUSED_PAD src0_sel:WORD_1 src1_sel:DWORD
	s_waitcnt lgkmcnt(2)
	v_lshrrev_b32_e32 v206, 16, v148
	v_fma_f16 v112, v17, v114, v112
	v_mul_f16_sdwa v114, v17, v114 dst_sel:DWORD dst_unused:UNUSED_PAD src0_sel:WORD_1 src1_sel:DWORD
	v_fma_f16 v17, v17, v205, -v114
	v_mul_f16_sdwa v114, v18, v206 dst_sel:DWORD dst_unused:UNUSED_PAD src0_sel:WORD_1 src1_sel:DWORD
	s_waitcnt lgkmcnt(1)
	v_lshrrev_b32_e32 v207, 16, v150
	v_fma_f16 v114, v18, v148, v114
	v_mul_f16_sdwa v148, v18, v148 dst_sel:DWORD dst_unused:UNUSED_PAD src0_sel:WORD_1 src1_sel:DWORD
	;; [unrolled: 6-line block ×3, first 2 shown]
	v_fma_f16 v19, v19, v207, -v150
	v_mul_f16_sdwa v150, v155, v208 dst_sel:DWORD dst_unused:UNUSED_PAD src0_sel:WORD_1 src1_sel:DWORD
	v_lshrrev_b32_e32 v210, 16, v113
	v_fma_f16 v150, v155, v156, v150
	v_mul_f16_sdwa v156, v155, v156 dst_sel:DWORD dst_unused:UNUSED_PAD src0_sel:WORD_1 src1_sel:DWORD
	v_fma_f16 v155, v155, v208, -v156
	v_mul_f16_sdwa v156, v20, v210 dst_sel:DWORD dst_unused:UNUSED_PAD src0_sel:WORD_1 src1_sel:DWORD
	v_lshrrev_b32_e32 v211, 16, v115
	v_fma_f16 v156, v20, v113, v156
	v_mul_f16_sdwa v113, v20, v113 dst_sel:DWORD dst_unused:UNUSED_PAD src0_sel:WORD_1 src1_sel:DWORD
	;; [unrolled: 5-line block ×5, first 2 shown]
	v_fma_f16 v23, v23, v213, -v151
	v_mul_f16_sdwa v151, v158, v214 dst_sel:DWORD dst_unused:UNUSED_PAD src0_sel:WORD_1 src1_sel:DWORD
	v_fma_f16 v151, v158, v157, v151
	v_mul_f16_sdwa v157, v158, v157 dst_sel:DWORD dst_unused:UNUSED_PAD src0_sel:WORD_1 src1_sel:DWORD
	v_add_f16_e32 v177, v92, v96
	v_lshrrev_b32_e32 v146, 16, v80
	v_fma_f16 v157, v158, v214, -v157
	v_add_f16_e32 v158, v80, v92
	v_fma_f16 v80, v177, -0.5, v80
	v_sub_f16_e32 v177, v1, v3
	s_mov_b32 s1, 0xbaee
	s_movk_i32 s0, 0x3aee
	v_fma_f16 v178, v177, s1, v80
	v_fma_f16 v80, v177, s0, v80
	v_add_f16_e32 v177, v146, v1
	v_add_f16_e32 v158, v158, v96
	v_add_f16_e32 v177, v177, v3
	v_add_f16_e32 v1, v1, v3
	v_sub_f16_e32 v3, v92, v96
	v_add_f16_e32 v96, v94, v98
	v_fma_f16 v1, v1, -0.5, v146
	v_fma_f16 v96, v96, -0.5, v215
	v_sub_f16_e32 v146, v2, v100
	v_fma_f16 v179, v146, s1, v96
	v_fma_f16 v96, v146, s0, v96
	v_add_f16_e32 v146, v0, v2
	v_add_f16_e32 v2, v2, v100
	v_fma_f16 v0, v2, -0.5, v0
	v_sub_f16_e32 v2, v94, v98
	v_fma_f16 v92, v3, s0, v1
	v_fma_f16 v1, v3, s1, v1
	v_add_f16_e32 v3, v215, v94
	v_fma_f16 v94, v2, s0, v0
	v_add_f16_e32 v3, v3, v98
	v_fma_f16 v0, v2, s1, v0
	v_mul_f16_e32 v98, 0xbaee, v94
	v_mul_f16_e32 v94, 0.5, v94
	v_mul_f16_e32 v180, 0xbaee, v0
	v_fma_f16 v94, v179, s0, v94
	v_mul_f16_e32 v0, -0.5, v0
	v_fma_f16 v98, v179, 0.5, v98
	v_add_f16_e32 v179, v92, v94
	v_fma_f16 v0, v96, s0, v0
	v_sub_f16_e32 v92, v92, v94
	v_add_f16_e32 v94, v93, v97
	v_lshrrev_b32_e32 v185, 16, v81
	v_fma_f16 v180, v96, -0.5, v180
	v_add_f16_e32 v96, v1, v0
	v_sub_f16_e32 v0, v1, v0
	v_add_f16_e32 v1, v81, v93
	v_fma_f16 v81, v94, -0.5, v81
	v_sub_f16_e32 v94, v5, v7
	v_add_f16_e32 v2, v158, v3
	v_sub_f16_e32 v3, v158, v3
	v_fma_f16 v158, v94, s1, v81
	v_fma_f16 v81, v94, s0, v81
	v_add_f16_e32 v94, v185, v5
	v_add_f16_e32 v5, v5, v7
	;; [unrolled: 1-line block ×4, first 2 shown]
	v_fma_f16 v5, v5, -0.5, v185
	v_sub_f16_e32 v7, v93, v97
	v_add_f16_e32 v97, v95, v99
	v_add_f16_e32 v146, v146, v100
	v_fma_f16 v93, v7, s0, v5
	v_fma_f16 v5, v7, s1, v5
	v_add_f16_e32 v7, v147, v95
	v_fma_f16 v97, v97, -0.5, v147
	v_sub_f16_e32 v147, v6, v101
	v_add_f16_e32 v186, v177, v146
	v_sub_f16_e32 v146, v177, v146
	v_fma_f16 v177, v147, s1, v97
	v_fma_f16 v97, v147, s0, v97
	v_add_f16_e32 v147, v4, v6
	v_add_f16_e32 v6, v6, v101
	v_fma_f16 v4, v6, -0.5, v4
	v_sub_f16_e32 v6, v95, v99
	v_fma_f16 v95, v6, s0, v4
	v_add_f16_e32 v7, v7, v99
	v_fma_f16 v4, v6, s1, v4
	v_mul_f16_e32 v99, 0xbaee, v95
	v_mul_f16_e32 v95, 0.5, v95
	v_add_f16_e32 v100, v178, v98
	v_sub_f16_e32 v98, v178, v98
	v_mul_f16_e32 v178, 0xbaee, v4
	v_fma_f16 v95, v177, s0, v95
	v_mul_f16_e32 v4, -0.5, v4
	v_fma_f16 v99, v177, 0.5, v99
	v_add_f16_e32 v177, v93, v95
	v_fma_f16 v4, v97, s0, v4
	v_sub_f16_e32 v93, v93, v95
	v_add_f16_e32 v95, v102, v106
	v_lshrrev_b32_e32 v191, 16, v78
	v_fma_f16 v178, v97, -0.5, v178
	v_add_f16_e32 v97, v5, v4
	v_sub_f16_e32 v4, v5, v4
	v_add_f16_e32 v5, v78, v102
	v_fma_f16 v78, v95, -0.5, v78
	v_sub_f16_e32 v95, v9, v11
	v_add_f16_e32 v147, v147, v101
	v_add_f16_e32 v6, v1, v7
	;; [unrolled: 1-line block ×3, first 2 shown]
	v_sub_f16_e32 v1, v1, v7
	v_sub_f16_e32 v7, v158, v99
	v_fma_f16 v99, v95, s1, v78
	v_fma_f16 v78, v95, s0, v78
	v_add_f16_e32 v95, v191, v9
	v_add_f16_e32 v5, v5, v106
	;; [unrolled: 1-line block ×4, first 2 shown]
	v_sub_f16_e32 v11, v102, v106
	v_add_f16_e32 v106, v104, v108
	v_add_f16_e32 v185, v94, v147
	v_sub_f16_e32 v94, v94, v147
	v_fma_f16 v9, v9, -0.5, v191
	v_fma_f16 v106, v106, -0.5, v152
	v_sub_f16_e32 v147, v10, v110
	v_fma_f16 v102, v11, s0, v9
	v_fma_f16 v9, v11, s1, v9
	v_add_f16_e32 v11, v152, v104
	v_fma_f16 v152, v147, s1, v106
	v_fma_f16 v106, v147, s0, v106
	v_add_f16_e32 v147, v8, v10
	v_add_f16_e32 v10, v10, v110
	v_fma_f16 v8, v10, -0.5, v8
	v_sub_f16_e32 v10, v104, v108
	v_fma_f16 v104, v10, s0, v8
	v_add_f16_e32 v11, v11, v108
	v_fma_f16 v8, v10, s1, v8
	v_mul_f16_e32 v108, 0xbaee, v104
	v_mul_f16_e32 v104, 0.5, v104
	v_fma_f16 v108, v152, 0.5, v108
	v_mul_f16_e32 v158, 0xbaee, v8
	v_fma_f16 v104, v152, s0, v104
	v_mul_f16_e32 v8, -0.5, v8
	v_add_f16_e32 v147, v147, v110
	v_add_f16_e32 v10, v5, v11
	;; [unrolled: 1-line block ×4, first 2 shown]
	v_fma_f16 v8, v106, s0, v8
	v_sub_f16_e32 v5, v5, v11
	v_sub_f16_e32 v11, v99, v108
	;; [unrolled: 1-line block ×3, first 2 shown]
	v_add_f16_e32 v102, v103, v107
	v_lshrrev_b32_e32 v197, 16, v79
	v_fma_f16 v158, v106, -0.5, v158
	v_add_f16_e32 v106, v9, v8
	v_sub_f16_e32 v8, v9, v8
	v_add_f16_e32 v9, v79, v103
	v_fma_f16 v79, v102, -0.5, v79
	v_sub_f16_e32 v102, v13, v15
	v_fma_f16 v104, v102, s1, v79
	v_fma_f16 v79, v102, s0, v79
	v_add_f16_e32 v102, v197, v13
	v_add_f16_e32 v9, v9, v107
	;; [unrolled: 1-line block ×4, first 2 shown]
	v_sub_f16_e32 v15, v103, v107
	v_add_f16_e32 v107, v105, v109
	v_fma_f16 v107, v107, -0.5, v153
	v_sub_f16_e32 v108, v14, v111
	v_add_f16_e32 v187, v95, v147
	v_sub_f16_e32 v95, v95, v147
	v_fma_f16 v147, v108, s1, v107
	v_fma_f16 v107, v108, s0, v107
	v_add_f16_e32 v108, v12, v14
	v_add_f16_e32 v14, v14, v111
	v_fma_f16 v13, v13, -0.5, v197
	v_fma_f16 v12, v14, -0.5, v12
	v_sub_f16_e32 v14, v105, v109
	v_fma_f16 v103, v15, s0, v13
	v_fma_f16 v13, v15, s1, v13
	v_add_f16_e32 v15, v153, v105
	v_fma_f16 v105, v14, s0, v12
	v_add_f16_e32 v15, v15, v109
	v_fma_f16 v12, v14, s1, v12
	v_mul_f16_e32 v109, 0xbaee, v105
	v_fma_f16 v109, v147, 0.5, v109
	v_mul_f16_e32 v153, 0xbaee, v12
	v_mul_f16_e32 v12, -0.5, v12
	v_add_f16_e32 v108, v108, v111
	v_add_f16_e32 v14, v9, v15
	;; [unrolled: 1-line block ×3, first 2 shown]
	v_mul_f16_e32 v105, 0.5, v105
	v_fma_f16 v12, v107, s0, v12
	v_sub_f16_e32 v9, v9, v15
	v_sub_f16_e32 v15, v104, v109
	v_add_f16_e32 v104, v112, v148
	v_lshrrev_b32_e32 v203, 16, v76
	v_fma_f16 v153, v107, -0.5, v153
	v_fma_f16 v105, v147, s0, v105
	v_add_f16_e32 v107, v13, v12
	v_sub_f16_e32 v12, v13, v12
	v_add_f16_e32 v13, v76, v112
	v_fma_f16 v76, v104, -0.5, v76
	v_sub_f16_e32 v104, v17, v19
	v_add_f16_e32 v147, v103, v105
	v_sub_f16_e32 v103, v103, v105
	v_fma_f16 v105, v104, s1, v76
	v_fma_f16 v76, v104, s0, v76
	v_add_f16_e32 v104, v203, v17
	v_add_f16_e32 v109, v114, v150
	;; [unrolled: 1-line block ×4, first 2 shown]
	v_sub_f16_e32 v19, v112, v148
	v_fma_f16 v109, v109, -0.5, v154
	v_sub_f16_e32 v112, v18, v155
	v_add_f16_e32 v13, v13, v148
	v_fma_f16 v148, v112, s1, v109
	v_fma_f16 v109, v112, s0, v109
	v_add_f16_e32 v112, v16, v18
	v_add_f16_e32 v18, v18, v155
	v_fma_f16 v17, v17, -0.5, v203
	v_fma_f16 v16, v18, -0.5, v16
	v_sub_f16_e32 v18, v114, v150
	v_add_f16_e32 v188, v102, v108
	v_sub_f16_e32 v102, v102, v108
	v_fma_f16 v108, v19, s0, v17
	v_fma_f16 v17, v19, s1, v17
	v_add_f16_e32 v19, v154, v114
	v_fma_f16 v114, v18, s0, v16
	v_add_f16_e32 v19, v19, v150
	v_fma_f16 v16, v18, s1, v16
	v_mul_f16_e32 v150, 0xbaee, v114
	v_mul_f16_e32 v114, 0.5, v114
	v_fma_f16 v150, v148, 0.5, v150
	v_mul_f16_e32 v154, 0xbaee, v16
	v_fma_f16 v114, v148, s0, v114
	v_mul_f16_e32 v16, -0.5, v16
	v_add_f16_e32 v181, v80, v180
	v_sub_f16_e32 v80, v80, v180
	v_add_f16_e32 v180, v81, v178
	v_sub_f16_e32 v81, v81, v178
	;; [unrolled: 2-line block ×4, first 2 shown]
	v_add_f16_e32 v18, v13, v19
	v_add_f16_e32 v153, v105, v150
	;; [unrolled: 1-line block ×3, first 2 shown]
	v_fma_f16 v16, v109, s0, v16
	v_sub_f16_e32 v13, v13, v19
	v_sub_f16_e32 v19, v105, v150
	;; [unrolled: 1-line block ×3, first 2 shown]
	v_add_f16_e32 v108, v113, v149
	v_lshrrev_b32_e32 v209, 16, v77
	v_add_f16_e32 v112, v112, v155
	v_fma_f16 v154, v109, -0.5, v154
	v_add_f16_e32 v109, v17, v16
	v_sub_f16_e32 v16, v17, v16
	v_add_f16_e32 v17, v77, v113
	v_fma_f16 v77, v108, -0.5, v77
	v_sub_f16_e32 v108, v21, v23
	v_add_f16_e32 v189, v104, v112
	v_sub_f16_e32 v104, v104, v112
	v_fma_f16 v112, v108, s1, v77
	v_fma_f16 v77, v108, s0, v77
	v_add_f16_e32 v108, v209, v21
	v_add_f16_e32 v114, v115, v151
	;; [unrolled: 1-line block ×5, first 2 shown]
	v_sub_f16_e32 v23, v113, v149
	v_fma_f16 v114, v114, -0.5, v156
	v_sub_f16_e32 v149, v22, v157
	v_fma_f16 v150, v149, s1, v114
	v_fma_f16 v114, v149, s0, v114
	v_add_f16_e32 v149, v20, v22
	v_add_f16_e32 v22, v22, v157
	v_fma_f16 v21, v21, -0.5, v209
	v_fma_f16 v20, v22, -0.5, v20
	v_sub_f16_e32 v22, v115, v151
	v_fma_f16 v113, v23, s0, v21
	v_fma_f16 v21, v23, s1, v21
	v_add_f16_e32 v23, v156, v115
	v_fma_f16 v115, v22, s0, v20
	v_fma_f16 v20, v22, s1, v20
	v_mul_f16_e32 v156, 0xbaee, v20
	v_mul_f16_e32 v20, -0.5, v20
	v_fma_f16 v20, v114, s0, v20
	v_fma_f16 v156, v114, -0.5, v156
	v_add_f16_e32 v114, v21, v20
	v_sub_f16_e32 v20, v21, v20
	v_pack_b32_f16 v2, v2, v186
	v_pack_b32_f16 v21, v100, v179
	s_waitcnt lgkmcnt(0)
	; wave barrier
	ds_write2_b32 v159, v2, v21 offset1:10
	v_pack_b32_f16 v2, v181, v96
	v_pack_b32_f16 v3, v3, v146
	ds_write2_b32 v159, v2, v3 offset0:20 offset1:30
	v_pack_b32_f16 v2, v98, v92
	v_pack_b32_f16 v0, v80, v0
	ds_write2_b32 v159, v2, v0 offset0:40 offset1:50
	v_pack_b32_f16 v0, v6, v185
	v_pack_b32_f16 v2, v101, v177
	ds_write2_b32 v160, v0, v2 offset1:10
	v_pack_b32_f16 v0, v180, v97
	v_pack_b32_f16 v1, v1, v94
	ds_write2_b32 v160, v0, v1 offset0:20 offset1:30
	v_pack_b32_f16 v0, v7, v93
	v_pack_b32_f16 v1, v81, v4
	ds_write2_b32 v160, v0, v1 offset0:40 offset1:50
	v_pack_b32_f16 v0, v10, v187
	v_pack_b32_f16 v1, v110, v152
	;; [unrolled: 9-line block ×3, first 2 shown]
	ds_write2_b32 v162, v0, v1 offset1:10
	v_pack_b32_f16 v0, v158, v107
	v_pack_b32_f16 v1, v9, v102
	ds_write2_b32 v162, v0, v1 offset0:20 offset1:30
	v_pack_b32_f16 v0, v15, v103
	v_pack_b32_f16 v1, v79, v12
	v_add_f16_e32 v155, v76, v154
	v_add_f16_e32 v23, v23, v151
	v_mul_f16_e32 v151, 0xbaee, v115
	v_mul_f16_e32 v115, 0.5, v115
	ds_write2_b32 v162, v0, v1 offset0:40 offset1:50
	v_pack_b32_f16 v0, v18, v189
	v_pack_b32_f16 v1, v153, v148
	v_sub_f16_e32 v76, v76, v154
	v_add_f16_e32 v149, v149, v157
	v_fma_f16 v151, v150, 0.5, v151
	v_fma_f16 v115, v150, s0, v115
	ds_write2_b32 v163, v0, v1 offset1:10
	v_pack_b32_f16 v0, v155, v109
	v_pack_b32_f16 v1, v13, v104
	v_add_f16_e32 v22, v17, v23
	v_add_f16_e32 v154, v112, v151
	;; [unrolled: 1-line block ×4, first 2 shown]
	ds_write2_b32 v163, v0, v1 offset0:20 offset1:30
	v_pack_b32_f16 v0, v19, v105
	v_pack_b32_f16 v1, v76, v16
	v_add_f16_e32 v157, v77, v156
	v_sub_f16_e32 v17, v17, v23
	v_sub_f16_e32 v108, v108, v149
	ds_write2_b32 v163, v0, v1 offset0:40 offset1:50
	v_pack_b32_f16 v0, v22, v190
	v_pack_b32_f16 v1, v154, v150
	v_sub_f16_e32 v23, v112, v151
	v_sub_f16_e32 v77, v77, v156
	v_sub_f16_e32 v112, v113, v115
	ds_write2_b32 v164, v0, v1 offset1:10
	v_pack_b32_f16 v0, v157, v114
	v_pack_b32_f16 v1, v17, v108
	ds_write2_b32 v164, v0, v1 offset0:20 offset1:30
	v_pack_b32_f16 v0, v23, v112
	v_pack_b32_f16 v1, v77, v20
	ds_write2_b32 v164, v0, v1 offset0:40 offset1:50
	s_waitcnt lgkmcnt(0)
	; wave barrier
	s_waitcnt lgkmcnt(0)
	ds_read2_b32 v[4:5], v68 offset1:60
	ds_read2_b32 v[6:7], v85 offset0:104 offset1:164
	ds_read2_b32 v[8:9], v84 offset0:80 offset1:140
	;; [unrolled: 1-line block ×5, first 2 shown]
	s_waitcnt lgkmcnt(4)
	v_lshrrev_b32_e32 v99, 16, v6
	v_mul_f16_sdwa v164, v24, v99 dst_sel:DWORD dst_unused:UNUSED_PAD src0_sel:WORD_1 src1_sel:DWORD
	s_waitcnt lgkmcnt(3)
	v_lshrrev_b32_e32 v100, 16, v8
	v_fma_f16 v164, v24, v6, v164
	v_mul_f16_sdwa v6, v24, v6 dst_sel:DWORD dst_unused:UNUSED_PAD src0_sel:WORD_1 src1_sel:DWORD
	v_fma_f16 v6, v24, v99, -v6
	v_mul_f16_sdwa v99, v25, v100 dst_sel:DWORD dst_unused:UNUSED_PAD src0_sel:WORD_1 src1_sel:DWORD
	s_waitcnt lgkmcnt(2)
	v_lshrrev_b32_e32 v101, 16, v10
	v_fma_f16 v99, v25, v8, v99
	v_mul_f16_sdwa v8, v25, v8 dst_sel:DWORD dst_unused:UNUSED_PAD src0_sel:WORD_1 src1_sel:DWORD
	v_fma_f16 v8, v25, v100, -v8
	v_mul_f16_sdwa v100, v26, v101 dst_sel:DWORD dst_unused:UNUSED_PAD src0_sel:WORD_1 src1_sel:DWORD
	s_waitcnt lgkmcnt(1)
	v_lshrrev_b32_e32 v102, 16, v12
	v_fma_f16 v100, v26, v10, v100
	v_mul_f16_sdwa v10, v26, v10 dst_sel:DWORD dst_unused:UNUSED_PAD src0_sel:WORD_1 src1_sel:DWORD
	v_fma_f16 v10, v26, v101, -v10
	v_mul_f16_sdwa v101, v27, v102 dst_sel:DWORD dst_unused:UNUSED_PAD src0_sel:WORD_1 src1_sel:DWORD
	s_waitcnt lgkmcnt(0)
	v_lshrrev_b32_e32 v103, 16, v14
	v_fma_f16 v101, v27, v12, v101
	v_mul_f16_sdwa v12, v27, v12 dst_sel:DWORD dst_unused:UNUSED_PAD src0_sel:WORD_1 src1_sel:DWORD
	v_fma_f16 v12, v27, v102, -v12
	v_mul_f16_sdwa v102, v165, v103 dst_sel:DWORD dst_unused:UNUSED_PAD src0_sel:WORD_1 src1_sel:DWORD
	v_lshrrev_b32_e32 v105, 16, v7
	v_fma_f16 v102, v165, v14, v102
	v_mul_f16_sdwa v14, v165, v14 dst_sel:DWORD dst_unused:UNUSED_PAD src0_sel:WORD_1 src1_sel:DWORD
	v_fma_f16 v14, v165, v103, -v14
	v_mul_f16_sdwa v103, v24, v105 dst_sel:DWORD dst_unused:UNUSED_PAD src0_sel:WORD_1 src1_sel:DWORD
	v_lshrrev_b32_e32 v106, 16, v9
	v_fma_f16 v103, v24, v7, v103
	v_mul_f16_sdwa v7, v24, v7 dst_sel:DWORD dst_unused:UNUSED_PAD src0_sel:WORD_1 src1_sel:DWORD
	v_fma_f16 v7, v24, v105, -v7
	;; [unrolled: 5-line block ×3, first 2 shown]
	v_mul_f16_sdwa v25, v26, v107 dst_sel:DWORD dst_unused:UNUSED_PAD src0_sel:WORD_1 src1_sel:DWORD
	ds_read2_b32 v[2:3], v68 offset0:120 offset1:180
	v_lshrrev_b32_e32 v108, 16, v13
	ds_read2_b32 v[16:17], v91 offset0:96 offset1:156
	ds_read2_b32 v[18:19], v88 offset0:72 offset1:132
	;; [unrolled: 1-line block ×5, first 2 shown]
	v_fma_f16 v25, v26, v11, v25
	v_mul_f16_sdwa v11, v26, v11 dst_sel:DWORD dst_unused:UNUSED_PAD src0_sel:WORD_1 src1_sel:DWORD
	s_waitcnt lgkmcnt(4)
	v_lshrrev_b32_e32 v111, 16, v16
	v_fma_f16 v11, v26, v107, -v11
	v_mul_f16_sdwa v26, v27, v108 dst_sel:DWORD dst_unused:UNUSED_PAD src0_sel:WORD_1 src1_sel:DWORD
	v_lshrrev_b32_e32 v109, 16, v15
	v_fma_f16 v26, v27, v13, v26
	v_mul_f16_sdwa v13, v27, v13 dst_sel:DWORD dst_unused:UNUSED_PAD src0_sel:WORD_1 src1_sel:DWORD
	v_mul_f16_sdwa v105, v28, v111 dst_sel:DWORD dst_unused:UNUSED_PAD src0_sel:WORD_1 src1_sel:DWORD
	s_waitcnt lgkmcnt(3)
	v_lshrrev_b32_e32 v112, 16, v18
	v_fma_f16 v13, v27, v108, -v13
	v_mul_f16_sdwa v27, v165, v109 dst_sel:DWORD dst_unused:UNUSED_PAD src0_sel:WORD_1 src1_sel:DWORD
	v_fma_f16 v105, v28, v16, v105
	v_mul_f16_sdwa v16, v28, v16 dst_sel:DWORD dst_unused:UNUSED_PAD src0_sel:WORD_1 src1_sel:DWORD
	v_fma_f16 v27, v165, v15, v27
	v_mul_f16_sdwa v15, v165, v15 dst_sel:DWORD dst_unused:UNUSED_PAD src0_sel:WORD_1 src1_sel:DWORD
	v_fma_f16 v16, v28, v111, -v16
	v_mul_f16_sdwa v28, v29, v112 dst_sel:DWORD dst_unused:UNUSED_PAD src0_sel:WORD_1 src1_sel:DWORD
	v_add_f16_e32 v111, v99, v101
	v_lshrrev_b32_e32 v98, 16, v4
	v_fma_f16 v15, v165, v109, -v15
	v_fma_f16 v28, v29, v18, v28
	v_mul_f16_sdwa v18, v29, v18 dst_sel:DWORD dst_unused:UNUSED_PAD src0_sel:WORD_1 src1_sel:DWORD
	v_add_f16_e32 v109, v4, v99
	v_fma_f16 v4, v111, -0.5, v4
	v_sub_f16_e32 v111, v8, v12
	s_waitcnt lgkmcnt(2)
	v_lshrrev_b32_e32 v113, 16, v20
	v_fma_f16 v18, v29, v112, -v18
	v_fma_f16 v112, v111, s1, v4
	v_fma_f16 v4, v111, s0, v4
	v_add_f16_e32 v111, v98, v8
	v_mul_f16_sdwa v29, v30, v113 dst_sel:DWORD dst_unused:UNUSED_PAD src0_sel:WORD_1 src1_sel:DWORD
	v_add_f16_e32 v111, v111, v12
	v_add_f16_e32 v8, v8, v12
	v_sub_f16_e32 v12, v99, v101
	v_add_f16_e32 v99, v100, v102
	v_fma_f16 v29, v30, v20, v29
	v_mul_f16_sdwa v20, v30, v20 dst_sel:DWORD dst_unused:UNUSED_PAD src0_sel:WORD_1 src1_sel:DWORD
	v_add_f16_e32 v109, v109, v101
	v_fma_f16 v99, v99, -0.5, v164
	v_sub_f16_e32 v101, v10, v14
	v_fma_f16 v20, v30, v113, -v20
	v_fma_f16 v113, v101, s1, v99
	v_fma_f16 v99, v101, s0, v99
	v_add_f16_e32 v101, v6, v10
	v_add_f16_e32 v10, v10, v14
	s_waitcnt lgkmcnt(1)
	v_lshrrev_b32_e32 v114, 16, v22
	v_fma_f16 v6, v10, -0.5, v6
	v_sub_f16_e32 v10, v100, v102
	v_mul_f16_sdwa v30, v31, v114 dst_sel:DWORD dst_unused:UNUSED_PAD src0_sel:WORD_1 src1_sel:DWORD
	v_fma_f16 v8, v8, -0.5, v98
	v_add_f16_e32 v101, v101, v14
	v_fma_f16 v14, v10, s0, v6
	v_fma_f16 v30, v31, v22, v30
	v_mul_f16_sdwa v22, v31, v22 dst_sel:DWORD dst_unused:UNUSED_PAD src0_sel:WORD_1 src1_sel:DWORD
	v_fma_f16 v98, v12, s0, v8
	v_fma_f16 v8, v12, s1, v8
	v_add_f16_e32 v12, v164, v100
	v_fma_f16 v6, v10, s1, v6
	v_mul_f16_e32 v100, 0xbaee, v14
	v_mul_f16_e32 v14, 0.5, v14
	v_fma_f16 v22, v31, v114, -v22
	v_mul_f16_e32 v114, 0xbaee, v6
	v_fma_f16 v14, v113, s0, v14
	v_mul_f16_e32 v6, -0.5, v6
	v_fma_f16 v100, v113, 0.5, v100
	v_add_f16_e32 v113, v98, v14
	v_fma_f16 v6, v99, s0, v6
	v_sub_f16_e32 v14, v98, v14
	v_add_f16_e32 v98, v24, v26
	v_lshrrev_b32_e32 v104, 16, v5
	v_add_f16_e32 v12, v12, v102
	v_fma_f16 v114, v99, -0.5, v114
	v_add_f16_e32 v99, v8, v6
	v_sub_f16_e32 v6, v8, v6
	v_add_f16_e32 v8, v5, v24
	v_fma_f16 v5, v98, -0.5, v5
	v_sub_f16_e32 v98, v9, v13
	v_add_f16_e32 v10, v109, v12
	v_sub_f16_e32 v12, v109, v12
	v_fma_f16 v109, v98, s1, v5
	v_fma_f16 v5, v98, s0, v5
	v_add_f16_e32 v98, v104, v9
	v_add_f16_e32 v9, v9, v13
	;; [unrolled: 1-line block ×4, first 2 shown]
	v_fma_f16 v9, v9, -0.5, v104
	v_sub_f16_e32 v13, v24, v26
	v_add_f16_e32 v26, v25, v27
	v_fma_f16 v24, v13, s0, v9
	v_fma_f16 v9, v13, s1, v9
	v_add_f16_e32 v13, v103, v25
	v_fma_f16 v26, v26, -0.5, v103
	v_sub_f16_e32 v103, v11, v15
	v_fma_f16 v104, v103, s1, v26
	v_fma_f16 v26, v103, s0, v26
	v_add_f16_e32 v103, v7, v11
	v_add_f16_e32 v11, v11, v15
	v_lshrrev_b32_e32 v147, 16, v17
	v_fma_f16 v7, v11, -0.5, v7
	v_sub_f16_e32 v11, v25, v27
	v_mul_f16_sdwa v106, v32, v147 dst_sel:DWORD dst_unused:UNUSED_PAD src0_sel:WORD_1 src1_sel:DWORD
	v_add_f16_e32 v103, v103, v15
	v_fma_f16 v15, v11, s0, v7
	v_fma_f16 v106, v32, v17, v106
	v_mul_f16_sdwa v17, v32, v17 dst_sel:DWORD dst_unused:UNUSED_PAD src0_sel:WORD_1 src1_sel:DWORD
	v_fma_f16 v7, v11, s1, v7
	v_mul_f16_e32 v25, 0xbaee, v15
	v_mul_f16_e32 v15, 0.5, v15
	s_waitcnt lgkmcnt(0)
	v_lshrrev_b32_e32 v115, 16, v76
	v_fma_f16 v17, v32, v147, -v17
	v_add_f16_e32 v147, v111, v101
	v_sub_f16_e32 v101, v111, v101
	v_mul_f16_e32 v111, 0xbaee, v7
	v_fma_f16 v15, v104, s0, v15
	v_mul_f16_e32 v7, -0.5, v7
	v_mul_f16_sdwa v31, v166, v115 dst_sel:DWORD dst_unused:UNUSED_PAD src0_sel:WORD_1 src1_sel:DWORD
	v_fma_f16 v25, v104, 0.5, v25
	v_add_f16_e32 v104, v24, v15
	v_fma_f16 v7, v26, s0, v7
	v_sub_f16_e32 v15, v24, v15
	v_add_f16_e32 v24, v28, v30
	v_lshrrev_b32_e32 v110, 16, v2
	v_fma_f16 v31, v166, v76, v31
	v_mul_f16_sdwa v76, v166, v76 dst_sel:DWORD dst_unused:UNUSED_PAD src0_sel:WORD_1 src1_sel:DWORD
	v_add_f16_e32 v13, v13, v27
	v_fma_f16 v111, v26, -0.5, v111
	v_add_f16_e32 v26, v9, v7
	v_sub_f16_e32 v7, v9, v7
	v_add_f16_e32 v9, v2, v28
	v_fma_f16 v2, v24, -0.5, v2
	v_sub_f16_e32 v24, v18, v22
	v_fma_f16 v76, v166, v115, -v76
	v_add_f16_e32 v115, v4, v114
	v_sub_f16_e32 v4, v4, v114
	v_add_f16_e32 v11, v8, v13
	v_add_f16_e32 v27, v109, v25
	;; [unrolled: 1-line block ×3, first 2 shown]
	v_sub_f16_e32 v8, v8, v13
	v_sub_f16_e32 v13, v109, v25
	;; [unrolled: 1-line block ×3, first 2 shown]
	v_fma_f16 v98, v24, s1, v2
	v_fma_f16 v2, v24, s0, v2
	v_add_f16_e32 v24, v110, v18
	v_lshrrev_b32_e32 v148, 16, v19
	v_add_f16_e32 v9, v9, v30
	v_add_f16_e32 v24, v24, v22
	;; [unrolled: 1-line block ×3, first 2 shown]
	v_sub_f16_e32 v22, v28, v30
	v_add_f16_e32 v30, v29, v31
	v_mul_f16_sdwa v32, v33, v148 dst_sel:DWORD dst_unused:UNUSED_PAD src0_sel:WORD_1 src1_sel:DWORD
	v_fma_f16 v18, v18, -0.5, v110
	v_fma_f16 v30, v30, -0.5, v105
	v_sub_f16_e32 v103, v20, v76
	v_lshrrev_b32_e32 v149, 16, v21
	v_fma_f16 v32, v33, v19, v32
	v_mul_f16_sdwa v19, v33, v19 dst_sel:DWORD dst_unused:UNUSED_PAD src0_sel:WORD_1 src1_sel:DWORD
	v_fma_f16 v28, v22, s0, v18
	v_fma_f16 v18, v22, s1, v18
	v_add_f16_e32 v22, v105, v29
	v_fma_f16 v105, v103, s1, v30
	v_fma_f16 v30, v103, s0, v30
	v_add_f16_e32 v103, v16, v20
	v_add_f16_e32 v20, v20, v76
	v_fma_f16 v19, v33, v148, -v19
	v_mul_f16_sdwa v33, v34, v149 dst_sel:DWORD dst_unused:UNUSED_PAD src0_sel:WORD_1 src1_sel:DWORD
	v_fma_f16 v16, v20, -0.5, v16
	v_sub_f16_e32 v20, v29, v31
	v_lshrrev_b32_e32 v150, 16, v23
	v_fma_f16 v33, v34, v21, v33
	v_mul_f16_sdwa v21, v34, v21 dst_sel:DWORD dst_unused:UNUSED_PAD src0_sel:WORD_1 src1_sel:DWORD
	v_fma_f16 v29, v20, s0, v16
	v_fma_f16 v21, v34, v149, -v21
	v_mul_f16_sdwa v34, v35, v150 dst_sel:DWORD dst_unused:UNUSED_PAD src0_sel:WORD_1 src1_sel:DWORD
	v_add_f16_e32 v22, v22, v31
	v_fma_f16 v16, v20, s1, v16
	v_mul_f16_e32 v31, 0xbaee, v29
	v_mul_f16_e32 v29, 0.5, v29
	v_fma_f16 v34, v35, v23, v34
	v_mul_f16_sdwa v23, v35, v23 dst_sel:DWORD dst_unused:UNUSED_PAD src0_sel:WORD_1 src1_sel:DWORD
	v_mul_f16_e32 v109, 0xbaee, v16
	v_fma_f16 v29, v105, s0, v29
	v_mul_f16_e32 v16, -0.5, v16
	ds_read2_b32 v[0:1], v90 offset0:112 offset1:172
	v_lshrrev_b32_e32 v151, 16, v77
	ds_read2_b32 v[78:79], v89 offset0:88 offset1:148
	ds_read2_b32 v[80:81], v88 offset0:192 offset1:252
	;; [unrolled: 1-line block ×5, first 2 shown]
	v_fma_f16 v23, v35, v150, -v23
	v_fma_f16 v31, v105, 0.5, v31
	v_add_f16_e32 v105, v28, v29
	v_fma_f16 v16, v30, s0, v16
	v_sub_f16_e32 v28, v28, v29
	v_add_f16_e32 v29, v32, v34
	v_lshrrev_b32_e32 v146, 16, v3
	s_waitcnt lgkmcnt(4)
	v_lshrrev_b32_e32 v153, 16, v78
	v_mul_f16_sdwa v35, v167, v151 dst_sel:DWORD dst_unused:UNUSED_PAD src0_sel:WORD_1 src1_sel:DWORD
	v_fma_f16 v109, v30, -0.5, v109
	v_add_f16_e32 v30, v18, v16
	v_sub_f16_e32 v16, v18, v16
	v_add_f16_e32 v18, v3, v32
	v_fma_f16 v3, v29, -0.5, v3
	v_sub_f16_e32 v29, v19, v23
	v_fma_f16 v35, v167, v77, v35
	v_mul_f16_sdwa v77, v167, v77 dst_sel:DWORD dst_unused:UNUSED_PAD src0_sel:WORD_1 src1_sel:DWORD
	v_mul_f16_sdwa v107, v36, v153 dst_sel:DWORD dst_unused:UNUSED_PAD src0_sel:WORD_1 src1_sel:DWORD
	v_add_f16_e32 v103, v103, v76
	v_add_f16_e32 v20, v9, v22
	;; [unrolled: 1-line block ×3, first 2 shown]
	v_sub_f16_e32 v9, v9, v22
	v_sub_f16_e32 v22, v98, v31
	v_fma_f16 v31, v29, s1, v3
	v_fma_f16 v3, v29, s0, v3
	v_add_f16_e32 v29, v146, v19
	s_waitcnt lgkmcnt(3)
	v_lshrrev_b32_e32 v154, 16, v80
	v_fma_f16 v77, v167, v151, -v77
	v_fma_f16 v107, v36, v78, v107
	v_mul_f16_sdwa v78, v36, v78 dst_sel:DWORD dst_unused:UNUSED_PAD src0_sel:WORD_1 src1_sel:DWORD
	v_add_f16_e32 v18, v18, v34
	v_add_f16_e32 v29, v29, v23
	;; [unrolled: 1-line block ×3, first 2 shown]
	v_sub_f16_e32 v23, v32, v34
	v_add_f16_e32 v34, v33, v35
	v_fma_f16 v36, v36, v153, -v78
	v_mul_f16_sdwa v78, v37, v154 dst_sel:DWORD dst_unused:UNUSED_PAD src0_sel:WORD_1 src1_sel:DWORD
	v_fma_f16 v34, v34, -0.5, v106
	v_sub_f16_e32 v98, v21, v77
	s_waitcnt lgkmcnt(2)
	v_lshrrev_b32_e32 v155, 16, v92
	v_fma_f16 v78, v37, v80, v78
	v_mul_f16_sdwa v80, v37, v80 dst_sel:DWORD dst_unused:UNUSED_PAD src0_sel:WORD_1 src1_sel:DWORD
	v_add_f16_e32 v102, v112, v100
	v_sub_f16_e32 v100, v112, v100
	v_add_f16_e32 v112, v5, v111
	v_sub_f16_e32 v5, v5, v111
	;; [unrolled: 2-line block ×3, first 2 shown]
	v_fma_f16 v103, v98, s1, v34
	v_fma_f16 v34, v98, s0, v34
	v_add_f16_e32 v98, v17, v21
	v_add_f16_e32 v21, v21, v77
	v_fma_f16 v37, v37, v154, -v80
	v_mul_f16_sdwa v80, v38, v155 dst_sel:DWORD dst_unused:UNUSED_PAD src0_sel:WORD_1 src1_sel:DWORD
	v_fma_f16 v19, v19, -0.5, v146
	v_fma_f16 v17, v21, -0.5, v17
	v_sub_f16_e32 v21, v33, v35
	s_waitcnt lgkmcnt(1)
	v_lshrrev_b32_e32 v156, 16, v94
	v_fma_f16 v80, v38, v92, v80
	v_mul_f16_sdwa v92, v38, v92 dst_sel:DWORD dst_unused:UNUSED_PAD src0_sel:WORD_1 src1_sel:DWORD
	v_fma_f16 v32, v23, s0, v19
	v_fma_f16 v19, v23, s1, v19
	v_add_f16_e32 v23, v106, v33
	v_fma_f16 v33, v21, s0, v17
	v_fma_f16 v38, v38, v155, -v92
	v_mul_f16_sdwa v92, v39, v156 dst_sel:DWORD dst_unused:UNUSED_PAD src0_sel:WORD_1 src1_sel:DWORD
	v_add_f16_e32 v23, v23, v35
	v_fma_f16 v17, v21, s1, v17
	v_mul_f16_e32 v35, 0xbaee, v33
	v_mul_f16_e32 v33, 0.5, v33
	s_waitcnt lgkmcnt(0)
	v_lshrrev_b32_e32 v157, 16, v96
	v_fma_f16 v92, v39, v94, v92
	v_mul_f16_sdwa v94, v39, v94 dst_sel:DWORD dst_unused:UNUSED_PAD src0_sel:WORD_1 src1_sel:DWORD
	v_fma_f16 v35, v103, 0.5, v35
	v_mul_f16_e32 v106, 0xbaee, v17
	v_fma_f16 v33, v103, s0, v33
	v_mul_f16_e32 v17, -0.5, v17
	v_lshrrev_b32_e32 v159, 16, v79
	v_fma_f16 v39, v39, v156, -v94
	v_mul_f16_sdwa v94, v168, v157 dst_sel:DWORD dst_unused:UNUSED_PAD src0_sel:WORD_1 src1_sel:DWORD
	v_add_f16_e32 v98, v98, v77
	v_add_f16_e32 v21, v18, v23
	;; [unrolled: 1-line block ×4, first 2 shown]
	v_fma_f16 v17, v34, s0, v17
	v_sub_f16_e32 v18, v18, v23
	v_sub_f16_e32 v23, v31, v35
	;; [unrolled: 1-line block ×3, first 2 shown]
	v_add_f16_e32 v32, v78, v92
	v_lshrrev_b32_e32 v152, 16, v0
	v_fma_f16 v94, v168, v96, v94
	v_mul_f16_sdwa v96, v168, v96 dst_sel:DWORD dst_unused:UNUSED_PAD src0_sel:WORD_1 src1_sel:DWORD
	v_mul_f16_sdwa v108, v40, v159 dst_sel:DWORD dst_unused:UNUSED_PAD src0_sel:WORD_1 src1_sel:DWORD
	v_fma_f16 v106, v34, -0.5, v106
	v_add_f16_e32 v34, v19, v17
	v_sub_f16_e32 v17, v19, v17
	v_add_f16_e32 v19, v0, v78
	v_fma_f16 v0, v32, -0.5, v0
	v_sub_f16_e32 v32, v37, v39
	v_lshrrev_b32_e32 v160, 16, v81
	v_fma_f16 v96, v168, v157, -v96
	v_fma_f16 v108, v40, v79, v108
	v_mul_f16_sdwa v79, v40, v79 dst_sel:DWORD dst_unused:UNUSED_PAD src0_sel:WORD_1 src1_sel:DWORD
	v_fma_f16 v33, v32, s1, v0
	v_fma_f16 v0, v32, s0, v0
	v_add_f16_e32 v32, v152, v37
	v_add_f16_e32 v35, v37, v39
	v_sub_f16_e32 v37, v78, v92
	v_add_f16_e32 v78, v80, v94
	v_fma_f16 v40, v40, v159, -v79
	v_mul_f16_sdwa v79, v41, v160 dst_sel:DWORD dst_unused:UNUSED_PAD src0_sel:WORD_1 src1_sel:DWORD
	v_add_f16_e32 v19, v19, v92
	v_fma_f16 v78, v78, -0.5, v107
	v_sub_f16_e32 v92, v38, v96
	v_lshrrev_b32_e32 v161, 16, v93
	v_fma_f16 v79, v41, v81, v79
	v_mul_f16_sdwa v81, v41, v81 dst_sel:DWORD dst_unused:UNUSED_PAD src0_sel:WORD_1 src1_sel:DWORD
	v_add_f16_e32 v146, v29, v98
	v_sub_f16_e32 v29, v29, v98
	v_fma_f16 v98, v92, s1, v78
	v_fma_f16 v78, v92, s0, v78
	v_add_f16_e32 v92, v36, v38
	v_add_f16_e32 v38, v38, v96
	v_fma_f16 v41, v41, v160, -v81
	v_mul_f16_sdwa v81, v42, v161 dst_sel:DWORD dst_unused:UNUSED_PAD src0_sel:WORD_1 src1_sel:DWORD
	v_fma_f16 v35, v35, -0.5, v152
	v_fma_f16 v36, v38, -0.5, v36
	v_sub_f16_e32 v38, v80, v94
	v_lshrrev_b32_e32 v162, 16, v95
	v_fma_f16 v81, v42, v93, v81
	v_mul_f16_sdwa v93, v42, v93 dst_sel:DWORD dst_unused:UNUSED_PAD src0_sel:WORD_1 src1_sel:DWORD
	v_add_f16_e32 v32, v32, v39
	v_fma_f16 v39, v37, s0, v35
	v_fma_f16 v35, v37, s1, v35
	v_add_f16_e32 v37, v107, v80
	v_fma_f16 v80, v38, s0, v36
	v_fma_f16 v42, v42, v161, -v93
	v_mul_f16_sdwa v93, v43, v162 dst_sel:DWORD dst_unused:UNUSED_PAD src0_sel:WORD_1 src1_sel:DWORD
	v_add_f16_e32 v37, v37, v94
	v_fma_f16 v36, v38, s1, v36
	v_mul_f16_e32 v94, 0xbaee, v80
	v_mul_f16_e32 v80, 0.5, v80
	v_lshrrev_b32_e32 v163, 16, v97
	v_fma_f16 v93, v43, v95, v93
	v_mul_f16_sdwa v95, v43, v95 dst_sel:DWORD dst_unused:UNUSED_PAD src0_sel:WORD_1 src1_sel:DWORD
	v_add_f16_e32 v110, v2, v109
	v_sub_f16_e32 v2, v2, v109
	v_add_f16_e32 v109, v3, v106
	v_sub_f16_e32 v3, v3, v106
	v_mul_f16_e32 v106, 0xbaee, v36
	v_fma_f16 v80, v98, s0, v80
	v_mul_f16_e32 v36, -0.5, v36
	v_fma_f16 v43, v43, v162, -v95
	v_mul_f16_sdwa v95, v169, v163 dst_sel:DWORD dst_unused:UNUSED_PAD src0_sel:WORD_1 src1_sel:DWORD
	v_add_f16_e32 v38, v19, v37
	v_fma_f16 v94, v98, 0.5, v94
	v_add_f16_e32 v98, v39, v80
	v_fma_f16 v36, v78, s0, v36
	v_sub_f16_e32 v19, v19, v37
	v_sub_f16_e32 v37, v39, v80
	v_add_f16_e32 v39, v79, v93
	v_lshrrev_b32_e32 v158, 16, v1
	v_fma_f16 v95, v169, v97, v95
	v_mul_f16_sdwa v97, v169, v97 dst_sel:DWORD dst_unused:UNUSED_PAD src0_sel:WORD_1 src1_sel:DWORD
	v_add_f16_e32 v92, v92, v96
	v_fma_f16 v106, v78, -0.5, v106
	v_add_f16_e32 v78, v35, v36
	v_sub_f16_e32 v35, v35, v36
	v_add_f16_e32 v36, v1, v79
	v_fma_f16 v1, v39, -0.5, v1
	v_sub_f16_e32 v39, v41, v43
	v_fma_f16 v97, v169, v163, -v97
	v_add_f16_e32 v148, v32, v92
	v_sub_f16_e32 v32, v32, v92
	v_fma_f16 v80, v39, s1, v1
	v_fma_f16 v1, v39, s0, v1
	v_add_f16_e32 v39, v158, v41
	v_add_f16_e32 v92, v81, v95
	v_add_f16_e32 v36, v36, v93
	v_add_f16_e32 v39, v39, v43
	v_add_f16_e32 v41, v41, v43
	v_sub_f16_e32 v43, v79, v93
	v_fma_f16 v92, v92, -0.5, v108
	v_sub_f16_e32 v93, v42, v97
	v_add_f16_e32 v96, v33, v94
	v_sub_f16_e32 v33, v33, v94
	v_fma_f16 v94, v93, s1, v92
	v_fma_f16 v92, v93, s0, v92
	v_add_f16_e32 v93, v40, v42
	v_add_f16_e32 v42, v42, v97
	v_fma_f16 v41, v41, -0.5, v158
	v_fma_f16 v40, v42, -0.5, v40
	v_sub_f16_e32 v42, v81, v95
	v_fma_f16 v79, v43, s0, v41
	v_fma_f16 v41, v43, s1, v41
	v_add_f16_e32 v43, v108, v81
	v_fma_f16 v81, v42, s0, v40
	v_fma_f16 v40, v42, s1, v40
	v_add_f16_e32 v107, v0, v106
	v_sub_f16_e32 v0, v0, v106
	v_mul_f16_e32 v106, 0xbaee, v40
	v_mul_f16_e32 v40, -0.5, v40
	v_fma_f16 v40, v92, s0, v40
	v_fma_f16 v106, v92, -0.5, v106
	v_add_f16_e32 v92, v41, v40
	v_sub_f16_e32 v40, v41, v40
	v_pack_b32_f16 v10, v10, v147
	v_pack_b32_f16 v41, v102, v113
	s_waitcnt lgkmcnt(0)
	; wave barrier
	ds_write2_b32 v68, v10, v41 offset1:60
	v_pack_b32_f16 v10, v115, v99
	v_pack_b32_f16 v12, v12, v101
	ds_write2_b32 v68, v10, v12 offset0:120 offset1:180
	v_pack_b32_f16 v10, v100, v14
	v_pack_b32_f16 v4, v4, v6
	ds_write2_b32 v90, v10, v4 offset0:112 offset1:172
	;; [unrolled: 3-line block ×5, first 2 shown]
	v_pack_b32_f16 v4, v20, v111
	v_pack_b32_f16 v5, v76, v105
	v_add_u32_e32 v6, 0xa00, v173
	ds_write2_b32 v6, v4, v5 offset0:80 offset1:140
	v_pack_b32_f16 v4, v110, v30
	v_pack_b32_f16 v5, v9, v24
	v_add_u32_e32 v6, 0xc00, v173
	ds_write2_b32 v6, v4, v5 offset0:72 offset1:132
	v_pack_b32_f16 v4, v22, v28
	v_pack_b32_f16 v2, v2, v16
	ds_write2_b32 v6, v4, v2 offset0:192 offset1:252
	v_pack_b32_f16 v2, v21, v146
	v_pack_b32_f16 v4, v77, v103
	v_add_u32_e32 v5, 0x1000, v172
	ds_write2_b32 v5, v2, v4 offset0:56 offset1:116
	v_pack_b32_f16 v2, v109, v34
	v_pack_b32_f16 v4, v18, v29
	ds_write2_b32 v5, v2, v4 offset0:176 offset1:236
	v_pack_b32_f16 v2, v23, v31
	v_pack_b32_f16 v3, v3, v17
	v_add_u32_e32 v4, 0x1400, v172
	v_add_f16_e32 v43, v43, v95
	v_mul_f16_e32 v95, 0xbaee, v81
	v_mul_f16_e32 v81, 0.5, v81
	ds_write2_b32 v4, v2, v3 offset0:40 offset1:100
	v_pack_b32_f16 v2, v38, v148
	v_pack_b32_f16 v3, v96, v98
	v_add_u32_e32 v4, 0x1400, v175
	v_add_f16_e32 v93, v93, v97
	v_fma_f16 v95, v94, 0.5, v95
	v_fma_f16 v81, v94, s0, v81
	ds_write2_b32 v4, v2, v3 offset0:160 offset1:220
	v_pack_b32_f16 v2, v107, v78
	v_pack_b32_f16 v3, v19, v32
	v_add_u32_e32 v4, 0x1800, v175
	v_add_f16_e32 v42, v36, v43
	v_add_f16_e32 v97, v80, v95
	;; [unrolled: 1-line block ×4, first 2 shown]
	ds_write2_b32 v4, v2, v3 offset0:24 offset1:84
	v_pack_b32_f16 v2, v33, v37
	v_pack_b32_f16 v0, v0, v35
	v_add_f16_e32 v108, v1, v106
	v_sub_f16_e32 v36, v36, v43
	v_sub_f16_e32 v39, v39, v93
	ds_write2_b32 v4, v2, v0 offset0:144 offset1:204
	v_pack_b32_f16 v0, v42, v149
	v_pack_b32_f16 v2, v97, v94
	v_add_u32_e32 v3, 0x1c00, v174
	v_sub_f16_e32 v43, v80, v95
	v_sub_f16_e32 v1, v1, v106
	;; [unrolled: 1-line block ×3, first 2 shown]
	ds_write2_b32 v3, v0, v2 offset0:8 offset1:68
	v_pack_b32_f16 v0, v108, v92
	v_pack_b32_f16 v2, v36, v39
	ds_write2_b32 v3, v0, v2 offset0:128 offset1:188
	v_pack_b32_f16 v0, v43, v79
	v_pack_b32_f16 v1, v1, v40
	v_add_u32_e32 v2, 0x1e00, v174
	ds_write2_b32 v2, v0, v1 offset0:120 offset1:180
	s_waitcnt lgkmcnt(0)
	; wave barrier
	s_waitcnt lgkmcnt(0)
	ds_read2_b32 v[6:7], v68 offset1:60
	ds_read2_b32 v[8:9], v85 offset0:104 offset1:164
	ds_read2_b32 v[10:11], v84 offset0:80 offset1:140
	;; [unrolled: 1-line block ×5, first 2 shown]
	s_waitcnt lgkmcnt(4)
	v_lshrrev_b32_e32 v38, 16, v8
	v_mul_f16_sdwa v114, v44, v38 dst_sel:DWORD dst_unused:UNUSED_PAD src0_sel:WORD_1 src1_sel:DWORD
	s_waitcnt lgkmcnt(3)
	v_lshrrev_b32_e32 v39, 16, v10
	v_fma_f16 v114, v44, v8, v114
	v_mul_f16_sdwa v8, v44, v8 dst_sel:DWORD dst_unused:UNUSED_PAD src0_sel:WORD_1 src1_sel:DWORD
	v_fma_f16 v8, v44, v38, -v8
	v_mul_f16_sdwa v38, v45, v39 dst_sel:DWORD dst_unused:UNUSED_PAD src0_sel:WORD_1 src1_sel:DWORD
	s_waitcnt lgkmcnt(2)
	v_lshrrev_b32_e32 v40, 16, v12
	v_fma_f16 v38, v45, v10, v38
	v_mul_f16_sdwa v10, v45, v10 dst_sel:DWORD dst_unused:UNUSED_PAD src0_sel:WORD_1 src1_sel:DWORD
	v_fma_f16 v10, v45, v39, -v10
	v_mul_f16_sdwa v39, v46, v40 dst_sel:DWORD dst_unused:UNUSED_PAD src0_sel:WORD_1 src1_sel:DWORD
	s_waitcnt lgkmcnt(1)
	v_lshrrev_b32_e32 v41, 16, v14
	v_fma_f16 v39, v46, v12, v39
	v_mul_f16_sdwa v12, v46, v12 dst_sel:DWORD dst_unused:UNUSED_PAD src0_sel:WORD_1 src1_sel:DWORD
	v_fma_f16 v12, v46, v40, -v12
	v_mul_f16_sdwa v40, v47, v41 dst_sel:DWORD dst_unused:UNUSED_PAD src0_sel:WORD_1 src1_sel:DWORD
	s_waitcnt lgkmcnt(0)
	v_lshrrev_b32_e32 v42, 16, v16
	v_fma_f16 v40, v47, v14, v40
	v_mul_f16_sdwa v14, v47, v14 dst_sel:DWORD dst_unused:UNUSED_PAD src0_sel:WORD_1 src1_sel:DWORD
	v_lshrrev_b32_e32 v77, 16, v11
	v_fma_f16 v14, v47, v41, -v14
	v_mul_f16_sdwa v41, v170, v42 dst_sel:DWORD dst_unused:UNUSED_PAD src0_sel:WORD_1 src1_sel:DWORD
	v_lshrrev_b32_e32 v76, 16, v9
	v_fma_f16 v41, v170, v16, v41
	v_mul_f16_sdwa v16, v170, v16 dst_sel:DWORD dst_unused:UNUSED_PAD src0_sel:WORD_1 src1_sel:DWORD
	v_mul_f16_sdwa v44, v49, v77 dst_sel:DWORD dst_unused:UNUSED_PAD src0_sel:WORD_1 src1_sel:DWORD
	v_lshrrev_b32_e32 v78, 16, v13
	v_fma_f16 v16, v170, v42, -v16
	v_mul_f16_sdwa v42, v48, v76 dst_sel:DWORD dst_unused:UNUSED_PAD src0_sel:WORD_1 src1_sel:DWORD
	v_fma_f16 v44, v49, v11, v44
	v_mul_f16_sdwa v11, v49, v11 dst_sel:DWORD dst_unused:UNUSED_PAD src0_sel:WORD_1 src1_sel:DWORD
	v_fma_f16 v42, v48, v9, v42
	v_mul_f16_sdwa v9, v48, v9 dst_sel:DWORD dst_unused:UNUSED_PAD src0_sel:WORD_1 src1_sel:DWORD
	v_fma_f16 v11, v49, v77, -v11
	v_mul_f16_sdwa v45, v50, v78 dst_sel:DWORD dst_unused:UNUSED_PAD src0_sel:WORD_1 src1_sel:DWORD
	v_add_f16_e32 v77, v38, v40
	v_lshrrev_b32_e32 v1, 16, v6
	v_fma_f16 v9, v48, v76, -v9
	v_fma_f16 v45, v50, v13, v45
	v_mul_f16_sdwa v13, v50, v13 dst_sel:DWORD dst_unused:UNUSED_PAD src0_sel:WORD_1 src1_sel:DWORD
	v_add_f16_e32 v76, v6, v38
	v_fma_f16 v6, v77, -0.5, v6
	v_sub_f16_e32 v77, v10, v14
	v_lshrrev_b32_e32 v79, 16, v15
	v_fma_f16 v13, v50, v78, -v13
	v_fma_f16 v78, v77, s1, v6
	v_fma_f16 v6, v77, s0, v6
	v_add_f16_e32 v77, v1, v10
	v_add_f16_e32 v10, v10, v14
	v_mul_f16_sdwa v46, v51, v79 dst_sel:DWORD dst_unused:UNUSED_PAD src0_sel:WORD_1 src1_sel:DWORD
	v_fma_f16 v1, v10, -0.5, v1
	v_sub_f16_e32 v10, v38, v40
	v_add_f16_e32 v38, v39, v41
	v_fma_f16 v46, v51, v15, v46
	v_mul_f16_sdwa v15, v51, v15 dst_sel:DWORD dst_unused:UNUSED_PAD src0_sel:WORD_1 src1_sel:DWORD
	v_add_f16_e32 v76, v76, v40
	v_fma_f16 v38, v38, -0.5, v114
	v_sub_f16_e32 v40, v12, v16
	v_fma_f16 v15, v51, v79, -v15
	v_fma_f16 v79, v40, s1, v38
	v_fma_f16 v38, v40, s0, v38
	v_add_f16_e32 v40, v8, v12
	v_add_f16_e32 v12, v12, v16
	v_lshrrev_b32_e32 v80, 16, v17
	v_fma_f16 v8, v12, -0.5, v8
	v_sub_f16_e32 v12, v39, v41
	v_mul_f16_sdwa v47, v171, v80 dst_sel:DWORD dst_unused:UNUSED_PAD src0_sel:WORD_1 src1_sel:DWORD
	v_add_f16_e32 v40, v40, v16
	v_fma_f16 v16, v12, s0, v8
	v_fma_f16 v47, v171, v17, v47
	v_mul_f16_sdwa v17, v171, v17 dst_sel:DWORD dst_unused:UNUSED_PAD src0_sel:WORD_1 src1_sel:DWORD
	v_add_f16_e32 v77, v77, v14
	v_fma_f16 v14, v10, s0, v1
	v_fma_f16 v1, v10, s1, v1
	v_add_f16_e32 v10, v114, v39
	v_fma_f16 v8, v12, s1, v8
	v_mul_f16_e32 v39, 0xbaee, v16
	v_mul_f16_e32 v16, 0.5, v16
	v_fma_f16 v17, v171, v80, -v17
	v_mul_f16_e32 v80, 0xbaee, v8
	v_fma_f16 v16, v79, s0, v16
	v_mul_f16_e32 v8, -0.5, v8
	v_fma_f16 v39, v79, 0.5, v39
	v_add_f16_e32 v79, v14, v16
	v_fma_f16 v8, v38, s0, v8
	v_sub_f16_e32 v14, v14, v16
	v_add_f16_e32 v16, v44, v46
	v_lshrrev_b32_e32 v43, 16, v7
	v_add_f16_e32 v10, v10, v41
	v_fma_f16 v80, v38, -0.5, v80
	v_add_f16_e32 v38, v1, v8
	v_sub_f16_e32 v1, v1, v8
	v_add_f16_e32 v8, v7, v44
	v_fma_f16 v7, v16, -0.5, v7
	v_sub_f16_e32 v16, v11, v15
	v_add_f16_e32 v12, v76, v10
	v_sub_f16_e32 v10, v76, v10
	v_fma_f16 v76, v16, s1, v7
	v_fma_f16 v7, v16, s0, v7
	v_add_f16_e32 v16, v43, v11
	v_add_f16_e32 v11, v11, v15
	ds_read2_b32 v[4:5], v68 offset0:120 offset1:180
	ds_read2_b32 v[18:19], v91 offset0:96 offset1:156
	ds_read2_b32 v[20:21], v88 offset0:72 offset1:132
	ds_read2_b32 v[22:23], v73 offset0:176 offset1:236
	ds_read2_b32 v[24:25], v83 offset0:24 offset1:84
	ds_read2_b32 v[26:27], v86 offset0:128 offset1:188
	v_add_f16_e32 v16, v16, v15
	v_fma_f16 v11, v11, -0.5, v43
	v_sub_f16_e32 v15, v44, v46
	v_add_f16_e32 v44, v45, v47
	v_fma_f16 v43, v15, s0, v11
	v_fma_f16 v11, v15, s1, v11
	v_add_f16_e32 v15, v42, v45
	v_fma_f16 v42, v44, -0.5, v42
	v_sub_f16_e32 v44, v13, v17
	v_add_f16_e32 v8, v8, v46
	v_fma_f16 v46, v44, s1, v42
	v_fma_f16 v42, v44, s0, v42
	v_add_f16_e32 v44, v9, v13
	v_add_f16_e32 v13, v13, v17
	s_waitcnt lgkmcnt(3)
	v_lshrrev_b32_e32 v92, 16, v20
	v_fma_f16 v9, v13, -0.5, v9
	v_sub_f16_e32 v13, v45, v47
	s_waitcnt lgkmcnt(1)
	v_lshrrev_b32_e32 v94, 16, v24
	v_mul_f16_sdwa v49, v57, v92 dst_sel:DWORD dst_unused:UNUSED_PAD src0_sel:WORD_1 src1_sel:DWORD
	v_add_f16_e32 v44, v44, v17
	v_fma_f16 v17, v13, s0, v9
	v_lshrrev_b32_e32 v91, 16, v18
	v_fma_f16 v49, v57, v20, v49
	v_mul_f16_sdwa v20, v57, v20 dst_sel:DWORD dst_unused:UNUSED_PAD src0_sel:WORD_1 src1_sel:DWORD
	v_mul_f16_sdwa v51, v59, v94 dst_sel:DWORD dst_unused:UNUSED_PAD src0_sel:WORD_1 src1_sel:DWORD
	v_fma_f16 v9, v13, s1, v9
	v_mul_f16_e32 v45, 0xbaee, v17
	v_mul_f16_e32 v17, 0.5, v17
	v_mul_f16_sdwa v48, v56, v91 dst_sel:DWORD dst_unused:UNUSED_PAD src0_sel:WORD_1 src1_sel:DWORD
	v_fma_f16 v20, v57, v92, -v20
	v_fma_f16 v51, v59, v24, v51
	v_mul_f16_sdwa v24, v59, v24 dst_sel:DWORD dst_unused:UNUSED_PAD src0_sel:WORD_1 src1_sel:DWORD
	v_add_f16_e32 v92, v77, v40
	v_sub_f16_e32 v40, v77, v40
	v_mul_f16_e32 v77, 0xbaee, v9
	v_fma_f16 v17, v46, s0, v17
	v_mul_f16_e32 v9, -0.5, v9
	v_lshrrev_b32_e32 v93, 16, v22
	s_waitcnt lgkmcnt(0)
	v_lshrrev_b32_e32 v95, 16, v26
	v_fma_f16 v48, v56, v18, v48
	v_mul_f16_sdwa v18, v56, v18 dst_sel:DWORD dst_unused:UNUSED_PAD src0_sel:WORD_1 src1_sel:DWORD
	v_fma_f16 v24, v59, v94, -v24
	v_fma_f16 v45, v46, 0.5, v45
	v_add_f16_e32 v46, v43, v17
	v_fma_f16 v9, v42, s0, v9
	v_sub_f16_e32 v17, v43, v17
	v_add_f16_e32 v43, v49, v51
	v_lshrrev_b32_e32 v81, 16, v4
	v_fma_f16 v18, v56, v91, -v18
	v_mul_f16_sdwa v50, v58, v93 dst_sel:DWORD dst_unused:UNUSED_PAD src0_sel:WORD_1 src1_sel:DWORD
	v_mul_f16_sdwa v56, v183, v95 dst_sel:DWORD dst_unused:UNUSED_PAD src0_sel:WORD_1 src1_sel:DWORD
	v_fma_f16 v77, v42, -0.5, v77
	v_add_f16_e32 v42, v11, v9
	v_sub_f16_e32 v9, v11, v9
	v_add_f16_e32 v11, v4, v49
	v_fma_f16 v4, v43, -0.5, v4
	v_sub_f16_e32 v43, v20, v24
	v_fma_f16 v50, v58, v22, v50
	v_mul_f16_sdwa v22, v58, v22 dst_sel:DWORD dst_unused:UNUSED_PAD src0_sel:WORD_1 src1_sel:DWORD
	v_fma_f16 v56, v183, v26, v56
	v_mul_f16_sdwa v26, v183, v26 dst_sel:DWORD dst_unused:UNUSED_PAD src0_sel:WORD_1 src1_sel:DWORD
	v_add_f16_e32 v91, v6, v80
	v_sub_f16_e32 v6, v6, v80
	v_add_f16_e32 v80, v16, v44
	v_sub_f16_e32 v16, v16, v44
	v_fma_f16 v44, v43, s1, v4
	v_fma_f16 v4, v43, s0, v4
	v_add_f16_e32 v43, v81, v20
	v_add_f16_e32 v20, v20, v24
	v_fma_f16 v22, v58, v93, -v22
	v_fma_f16 v26, v183, v95, -v26
	v_add_f16_e32 v15, v15, v47
	v_add_f16_e32 v43, v43, v24
	v_fma_f16 v20, v20, -0.5, v81
	v_sub_f16_e32 v24, v49, v51
	v_add_f16_e32 v49, v50, v56
	v_add_f16_e32 v13, v8, v15
	v_add_f16_e32 v47, v76, v45
	v_sub_f16_e32 v8, v8, v15
	v_sub_f16_e32 v15, v76, v45
	v_fma_f16 v45, v24, s0, v20
	v_fma_f16 v20, v24, s1, v20
	v_add_f16_e32 v24, v48, v50
	v_fma_f16 v48, v49, -0.5, v48
	v_sub_f16_e32 v49, v22, v26
	v_lshrrev_b32_e32 v97, 16, v19
	v_add_f16_e32 v11, v11, v51
	v_fma_f16 v51, v49, s1, v48
	v_fma_f16 v48, v49, s0, v48
	v_add_f16_e32 v49, v18, v22
	v_add_f16_e32 v22, v22, v26
	v_mul_f16_sdwa v57, v60, v97 dst_sel:DWORD dst_unused:UNUSED_PAD src0_sel:WORD_1 src1_sel:DWORD
	v_fma_f16 v18, v22, -0.5, v18
	v_sub_f16_e32 v22, v50, v56
	v_lshrrev_b32_e32 v98, 16, v21
	v_lshrrev_b32_e32 v100, 16, v25
	v_fma_f16 v57, v60, v19, v57
	v_mul_f16_sdwa v19, v60, v19 dst_sel:DWORD dst_unused:UNUSED_PAD src0_sel:WORD_1 src1_sel:DWORD
	v_add_f16_e32 v49, v49, v26
	v_fma_f16 v26, v22, s0, v18
	v_fma_f16 v19, v60, v97, -v19
	v_mul_f16_sdwa v58, v61, v98 dst_sel:DWORD dst_unused:UNUSED_PAD src0_sel:WORD_1 src1_sel:DWORD
	v_mul_f16_sdwa v60, v63, v100 dst_sel:DWORD dst_unused:UNUSED_PAD src0_sel:WORD_1 src1_sel:DWORD
	v_fma_f16 v18, v22, s1, v18
	v_mul_f16_e32 v50, 0xbaee, v26
	v_fma_f16 v58, v61, v21, v58
	v_mul_f16_sdwa v21, v61, v21 dst_sel:DWORD dst_unused:UNUSED_PAD src0_sel:WORD_1 src1_sel:DWORD
	v_fma_f16 v60, v63, v25, v60
	v_mul_f16_sdwa v25, v63, v25 dst_sel:DWORD dst_unused:UNUSED_PAD src0_sel:WORD_1 src1_sel:DWORD
	v_add_f16_e32 v24, v24, v56
	v_fma_f16 v50, v51, 0.5, v50
	v_mul_f16_e32 v76, 0xbaee, v18
	v_mul_f16_e32 v18, -0.5, v18
	v_lshrrev_b32_e32 v99, 16, v23
	v_lshrrev_b32_e32 v101, 16, v27
	v_fma_f16 v21, v61, v98, -v21
	v_fma_f16 v25, v63, v100, -v25
	v_add_f16_e32 v22, v11, v24
	v_add_f16_e32 v56, v44, v50
	v_mul_f16_e32 v26, 0.5, v26
	v_fma_f16 v18, v48, s0, v18
	v_sub_f16_e32 v11, v11, v24
	v_sub_f16_e32 v24, v44, v50
	v_add_f16_e32 v44, v58, v60
	v_lshrrev_b32_e32 v96, 16, v5
	v_mul_f16_sdwa v59, v62, v99 dst_sel:DWORD dst_unused:UNUSED_PAD src0_sel:WORD_1 src1_sel:DWORD
	v_mul_f16_sdwa v61, v182, v101 dst_sel:DWORD dst_unused:UNUSED_PAD src0_sel:WORD_1 src1_sel:DWORD
	v_fma_f16 v76, v48, -0.5, v76
	v_fma_f16 v26, v51, s0, v26
	v_add_f16_e32 v48, v20, v18
	v_sub_f16_e32 v18, v20, v18
	v_add_f16_e32 v20, v5, v58
	v_fma_f16 v5, v44, -0.5, v5
	v_sub_f16_e32 v44, v21, v25
	v_fma_f16 v59, v62, v23, v59
	v_mul_f16_sdwa v23, v62, v23 dst_sel:DWORD dst_unused:UNUSED_PAD src0_sel:WORD_1 src1_sel:DWORD
	v_fma_f16 v61, v182, v27, v61
	v_mul_f16_sdwa v27, v182, v27 dst_sel:DWORD dst_unused:UNUSED_PAD src0_sel:WORD_1 src1_sel:DWORD
	v_add_f16_e32 v51, v45, v26
	v_sub_f16_e32 v26, v45, v26
	v_fma_f16 v45, v44, s1, v5
	v_fma_f16 v5, v44, s0, v5
	v_add_f16_e32 v44, v96, v21
	v_add_f16_e32 v21, v21, v25
	ds_read2_b32 v[2:3], v90 offset0:112 offset1:172
	ds_read2_b32 v[28:29], v89 offset0:88 offset1:148
	;; [unrolled: 1-line block ×6, first 2 shown]
	v_fma_f16 v23, v62, v99, -v23
	v_fma_f16 v27, v182, v101, -v27
	v_add_f16_e32 v44, v44, v25
	v_fma_f16 v21, v21, -0.5, v96
	v_sub_f16_e32 v25, v58, v60
	v_add_f16_e32 v50, v59, v61
	v_add_f16_e32 v81, v43, v49
	v_sub_f16_e32 v43, v43, v49
	v_fma_f16 v49, v25, s0, v21
	v_fma_f16 v21, v25, s1, v21
	v_add_f16_e32 v25, v57, v59
	v_fma_f16 v50, v50, -0.5, v57
	v_sub_f16_e32 v57, v23, v27
	s_waitcnt lgkmcnt(4)
	v_lshrrev_b32_e32 v103, 16, v28
	s_waitcnt lgkmcnt(3)
	v_lshrrev_b32_e32 v104, 16, v30
	v_fma_f16 v58, v57, s1, v50
	v_fma_f16 v50, v57, s0, v50
	v_add_f16_e32 v57, v19, v23
	v_add_f16_e32 v23, v23, v27
	v_mul_f16_sdwa v62, v64, v103 dst_sel:DWORD dst_unused:UNUSED_PAD src0_sel:WORD_1 src1_sel:DWORD
	v_mul_f16_sdwa v63, v65, v104 dst_sel:DWORD dst_unused:UNUSED_PAD src0_sel:WORD_1 src1_sel:DWORD
	v_fma_f16 v19, v23, -0.5, v19
	v_sub_f16_e32 v23, v59, v61
	s_waitcnt lgkmcnt(2)
	v_lshrrev_b32_e32 v105, 16, v32
	s_waitcnt lgkmcnt(1)
	v_lshrrev_b32_e32 v106, 16, v34
	v_fma_f16 v62, v64, v28, v62
	v_mul_f16_sdwa v28, v64, v28 dst_sel:DWORD dst_unused:UNUSED_PAD src0_sel:WORD_1 src1_sel:DWORD
	v_fma_f16 v63, v65, v30, v63
	v_mul_f16_sdwa v30, v65, v30 dst_sel:DWORD dst_unused:UNUSED_PAD src0_sel:WORD_1 src1_sel:DWORD
	v_add_f16_e32 v57, v57, v27
	v_fma_f16 v27, v23, s0, v19
	v_fma_f16 v28, v64, v103, -v28
	v_fma_f16 v30, v65, v104, -v30
	v_mul_f16_sdwa v64, v66, v105 dst_sel:DWORD dst_unused:UNUSED_PAD src0_sel:WORD_1 src1_sel:DWORD
	v_mul_f16_sdwa v65, v67, v106 dst_sel:DWORD dst_unused:UNUSED_PAD src0_sel:WORD_1 src1_sel:DWORD
	v_fma_f16 v19, v23, s1, v19
	v_mul_f16_e32 v59, 0xbaee, v27
	s_waitcnt lgkmcnt(0)
	v_lshrrev_b32_e32 v107, 16, v36
	v_fma_f16 v64, v66, v32, v64
	v_mul_f16_sdwa v32, v66, v32 dst_sel:DWORD dst_unused:UNUSED_PAD src0_sel:WORD_1 src1_sel:DWORD
	v_fma_f16 v65, v67, v34, v65
	v_mul_f16_sdwa v34, v67, v34 dst_sel:DWORD dst_unused:UNUSED_PAD src0_sel:WORD_1 src1_sel:DWORD
	v_add_f16_e32 v20, v20, v60
	v_add_f16_e32 v25, v25, v61
	v_fma_f16 v59, v58, 0.5, v59
	v_mul_f16_e32 v61, 0xbaee, v19
	v_mul_f16_e32 v19, -0.5, v19
	v_lshrrev_b32_e32 v109, 16, v29
	v_fma_f16 v32, v66, v105, -v32
	v_fma_f16 v34, v67, v106, -v34
	v_mul_f16_sdwa v66, v184, v107 dst_sel:DWORD dst_unused:UNUSED_PAD src0_sel:WORD_1 src1_sel:DWORD
	v_add_f16_e32 v23, v20, v25
	v_add_f16_e32 v60, v45, v59
	v_mul_f16_e32 v27, 0.5, v27
	v_fma_f16 v19, v50, s0, v19
	v_sub_f16_e32 v20, v20, v25
	v_sub_f16_e32 v25, v45, v59
	v_add_f16_e32 v45, v63, v65
	v_lshrrev_b32_e32 v102, 16, v2
	v_fma_f16 v66, v184, v36, v66
	v_mul_f16_sdwa v36, v184, v36 dst_sel:DWORD dst_unused:UNUSED_PAD src0_sel:WORD_1 src1_sel:DWORD
	v_mul_f16_sdwa v67, v52, v109 dst_sel:DWORD dst_unused:UNUSED_PAD src0_sel:WORD_1 src1_sel:DWORD
	v_fma_f16 v61, v50, -0.5, v61
	v_fma_f16 v27, v58, s0, v27
	v_add_f16_e32 v50, v21, v19
	v_sub_f16_e32 v19, v21, v19
	v_add_f16_e32 v21, v2, v63
	v_fma_f16 v2, v45, -0.5, v2
	v_sub_f16_e32 v45, v30, v34
	v_lshrrev_b32_e32 v110, 16, v31
	v_fma_f16 v36, v184, v107, -v36
	v_fma_f16 v67, v52, v29, v67
	v_mul_f16_sdwa v29, v52, v29 dst_sel:DWORD dst_unused:UNUSED_PAD src0_sel:WORD_1 src1_sel:DWORD
	v_add_f16_e32 v58, v49, v27
	v_sub_f16_e32 v27, v49, v27
	v_fma_f16 v49, v45, s1, v2
	v_fma_f16 v2, v45, s0, v2
	v_add_f16_e32 v45, v102, v30
	v_add_f16_e32 v30, v30, v34
	;; [unrolled: 1-line block ×3, first 2 shown]
	v_fma_f16 v29, v52, v109, -v29
	v_mul_f16_sdwa v52, v53, v110 dst_sel:DWORD dst_unused:UNUSED_PAD src0_sel:WORD_1 src1_sel:DWORD
	v_add_f16_e32 v41, v78, v39
	v_sub_f16_e32 v39, v78, v39
	v_add_f16_e32 v78, v7, v77
	v_sub_f16_e32 v7, v7, v77
	;; [unrolled: 2-line block ×4, first 2 shown]
	v_add_f16_e32 v45, v45, v34
	v_fma_f16 v30, v30, -0.5, v102
	v_sub_f16_e32 v34, v63, v65
	v_fma_f16 v59, v59, -0.5, v62
	v_sub_f16_e32 v61, v32, v36
	v_lshrrev_b32_e32 v111, 16, v33
	v_fma_f16 v52, v53, v31, v52
	v_mul_f16_sdwa v31, v53, v31 dst_sel:DWORD dst_unused:UNUSED_PAD src0_sel:WORD_1 src1_sel:DWORD
	v_add_f16_e32 v93, v44, v57
	v_sub_f16_e32 v44, v44, v57
	v_fma_f16 v57, v34, s0, v30
	v_fma_f16 v30, v34, s1, v30
	v_add_f16_e32 v34, v62, v64
	v_fma_f16 v62, v61, s1, v59
	v_fma_f16 v59, v61, s0, v59
	v_add_f16_e32 v61, v28, v32
	v_add_f16_e32 v32, v32, v36
	v_fma_f16 v31, v53, v110, -v31
	v_mul_f16_sdwa v53, v54, v111 dst_sel:DWORD dst_unused:UNUSED_PAD src0_sel:WORD_1 src1_sel:DWORD
	v_fma_f16 v28, v32, -0.5, v28
	v_sub_f16_e32 v32, v64, v66
	v_lshrrev_b32_e32 v112, 16, v35
	v_fma_f16 v53, v54, v33, v53
	v_mul_f16_sdwa v33, v54, v33 dst_sel:DWORD dst_unused:UNUSED_PAD src0_sel:WORD_1 src1_sel:DWORD
	v_add_f16_e32 v61, v61, v36
	v_fma_f16 v36, v32, s0, v28
	v_fma_f16 v33, v54, v111, -v33
	v_mul_f16_sdwa v54, v55, v112 dst_sel:DWORD dst_unused:UNUSED_PAD src0_sel:WORD_1 src1_sel:DWORD
	v_fma_f16 v28, v32, s1, v28
	v_mul_f16_e32 v63, 0xbaee, v36
	v_fma_f16 v54, v55, v35, v54
	v_mul_f16_sdwa v35, v55, v35 dst_sel:DWORD dst_unused:UNUSED_PAD src0_sel:WORD_1 src1_sel:DWORD
	v_add_f16_e32 v21, v21, v65
	v_add_f16_e32 v34, v34, v66
	v_fma_f16 v63, v62, 0.5, v63
	v_mul_f16_e32 v65, 0xbaee, v28
	v_mul_f16_e32 v28, -0.5, v28
	v_lshrrev_b32_e32 v113, 16, v37
	v_fma_f16 v35, v55, v112, -v35
	v_add_f16_e32 v32, v21, v34
	v_add_f16_e32 v64, v49, v63
	v_mul_f16_e32 v36, 0.5, v36
	v_fma_f16 v28, v59, s0, v28
	v_sub_f16_e32 v21, v21, v34
	v_sub_f16_e32 v34, v49, v63
	v_add_f16_e32 v49, v52, v54
	v_lshrrev_b32_e32 v108, 16, v3
	v_mul_f16_sdwa v55, v176, v113 dst_sel:DWORD dst_unused:UNUSED_PAD src0_sel:WORD_1 src1_sel:DWORD
	v_fma_f16 v65, v59, -0.5, v65
	v_fma_f16 v36, v62, s0, v36
	v_add_f16_e32 v59, v30, v28
	v_sub_f16_e32 v28, v30, v28
	v_add_f16_e32 v30, v3, v52
	v_fma_f16 v3, v49, -0.5, v3
	v_sub_f16_e32 v49, v31, v35
	v_fma_f16 v55, v176, v37, v55
	v_mul_f16_sdwa v37, v176, v37 dst_sel:DWORD dst_unused:UNUSED_PAD src0_sel:WORD_1 src1_sel:DWORD
	v_add_f16_e32 v62, v57, v36
	v_sub_f16_e32 v36, v57, v36
	v_fma_f16 v57, v49, s1, v3
	v_fma_f16 v3, v49, s0, v3
	v_add_f16_e32 v49, v108, v31
	v_fma_f16 v37, v176, v113, -v37
	v_add_f16_e32 v30, v30, v54
	v_add_f16_e32 v49, v49, v35
	v_add_f16_e32 v31, v31, v35
	v_sub_f16_e32 v35, v52, v54
	v_add_f16_e32 v54, v53, v55
	v_add_f16_e32 v94, v45, v61
	v_sub_f16_e32 v45, v45, v61
	v_fma_f16 v54, v54, -0.5, v67
	v_sub_f16_e32 v61, v33, v37
	v_fma_f16 v63, v61, s1, v54
	v_fma_f16 v54, v61, s0, v54
	v_add_f16_e32 v61, v29, v33
	v_add_f16_e32 v33, v33, v37
	v_fma_f16 v29, v33, -0.5, v29
	v_sub_f16_e32 v33, v53, v55
	v_add_f16_e32 v61, v61, v37
	v_fma_f16 v37, v33, s0, v29
	v_fma_f16 v29, v33, s1, v29
	v_add_f16_e32 v66, v2, v65
	v_sub_f16_e32 v2, v2, v65
	v_fma_f16 v31, v31, -0.5, v108
	v_mul_f16_e32 v65, 0xbaee, v29
	v_mul_f16_e32 v29, -0.5, v29
	v_fma_f16 v52, v35, s0, v31
	v_fma_f16 v31, v35, s1, v31
	;; [unrolled: 1-line block ×3, first 2 shown]
	v_fma_f16 v65, v54, -0.5, v65
	v_add_f16_e32 v54, v31, v29
	v_sub_f16_e32 v29, v31, v29
	v_pack_b32_f16 v31, v41, v79
	v_pack_b32_f16 v10, v10, v40
	;; [unrolled: 1-line block ×4, first 2 shown]
	ds_write_b32 v68, v31 offset:1440
	v_pack_b32_f16 v31, v91, v38
	ds_write_b32 v68, v10 offset:4320
	v_pack_b32_f16 v10, v39, v14
	;; [unrolled: 2-line block ×3, first 2 shown]
	ds_write_b32 v68, v31 offset:2880
	ds_write_b32 v68, v10 offset:5760
	ds_write2_b32 v68, v12, v1 offset1:60
	v_pack_b32_f16 v1, v47, v46
	v_pack_b32_f16 v8, v8, v16
	;; [unrolled: 1-line block ×4, first 2 shown]
	ds_write_b32 v68, v8 offset:4560
	ds_write2_b32 v85, v1, v10 offset0:164 offset1:224
	v_pack_b32_f16 v1, v77, v48
	ds_write2_b32 v88, v6, v1 offset0:12 offset1:72
	v_pack_b32_f16 v1, v11, v43
	v_pack_b32_f16 v8, v15, v17
	ds_write_b32 v68, v1 offset:4800
	v_pack_b32_f16 v1, v24, v26
	v_add_u32_e32 v6, 0x1600, v68
	v_pack_b32_f16 v7, v7, v9
	ds_write2_b32 v6, v8, v1 offset0:92 offset1:152
	v_pack_b32_f16 v1, v4, v18
	v_pack_b32_f16 v9, v22, v81
	ds_write2_b32 v86, v7, v1 offset0:68 offset1:128
	v_pack_b32_f16 v1, v23, v93
	ds_write2_b32 v68, v9, v1 offset0:120 offset1:180
	v_pack_b32_f16 v1, v60, v58
	v_pack_b32_f16 v9, v64, v62
	;; [unrolled: 1-line block ×3, first 2 shown]
	ds_write2_b32 v89, v1, v9 offset0:28 offset1:88
	v_pack_b32_f16 v1, v66, v59
	v_add_f16_e32 v35, v67, v53
	v_pack_b32_f16 v6, v20, v44
	ds_write2_b32 v88, v4, v1 offset0:132 offset1:192
	v_pack_b32_f16 v1, v21, v45
	v_add_u32_e32 v4, 0x1200, v68
	v_add_f16_e32 v35, v35, v55
	v_mul_f16_e32 v53, 0xbaee, v37
	v_mul_f16_e32 v37, 0.5, v37
	v_pack_b32_f16 v7, v25, v27
	ds_write2_b32 v4, v6, v1 offset0:108 offset1:168
	v_pack_b32_f16 v1, v34, v36
	v_add_f16_e32 v33, v30, v35
	v_fma_f16 v53, v63, 0.5, v53
	v_add_f16_e32 v95, v49, v61
	v_fma_f16 v37, v63, s0, v37
	v_pack_b32_f16 v5, v5, v19
	ds_write2_b32 v83, v7, v1 offset0:84 offset1:144
	v_pack_b32_f16 v1, v2, v28
	v_add_f16_e32 v55, v57, v53
	v_add_f16_e32 v63, v52, v37
	v_pack_b32_f16 v8, v32, v94
	ds_write2_b32 v86, v5, v1 offset0:188 offset1:248
	v_pack_b32_f16 v1, v33, v95
	v_add_f16_e32 v67, v3, v65
	ds_write2_b32 v90, v8, v1 offset0:112 offset1:172
	v_pack_b32_f16 v1, v55, v63
	v_sub_f16_e32 v30, v30, v35
	v_sub_f16_e32 v49, v49, v61
	ds_write_b32 v68, v1 offset:2640
	v_pack_b32_f16 v1, v67, v54
	v_sub_f16_e32 v35, v57, v53
	v_sub_f16_e32 v37, v52, v37
	ds_write_b32 v68, v1 offset:4080
	v_pack_b32_f16 v1, v30, v49
	v_sub_f16_e32 v3, v3, v65
	ds_write_b32 v68, v1 offset:5520
	v_pack_b32_f16 v1, v35, v37
	ds_write_b32 v68, v1 offset:6960
	v_pack_b32_f16 v1, v3, v29
	ds_write_b32 v68, v1 offset:8400
	s_waitcnt lgkmcnt(0)
	; wave barrier
	s_waitcnt lgkmcnt(0)
	ds_read2_b32 v[12:13], v68 offset1:60
	v_mad_u64_u32 v[4:5], s[0:1], s6, v74, 0
	v_mov_b32_e32 v2, v5
	s_movk_i32 s17, 0x1ff
	s_waitcnt lgkmcnt(0)
	v_lshrrev_b32_e32 v6, 16, v12
	v_mul_f16_sdwa v3, v145, v6 dst_sel:DWORD dst_unused:UNUSED_PAD src0_sel:WORD_1 src1_sel:DWORD
	v_fma_f16 v3, v145, v12, v3
	v_cvt_f32_f16_e32 v7, v3
	v_mad_u64_u32 v[2:3], s[0:1], s7, v74, v[2:3]
	s_mov_b32 s6, 0xc901e574
	v_mov_b32_e32 v5, v2
	v_cvt_f64_f32_e32 v[2:3], v7
	s_mov_b32 s7, 0x3f3e573a
	v_mul_f64 v[2:3], v[2:3], s[6:7]
	v_and_or_b32 v2, v3, s17, v2
	v_cmp_ne_u32_e32 vcc, 0, v2
	v_lshrrev_b32_e32 v7, 8, v3
	s_movk_i32 s16, 0xffe
	v_cndmask_b32_e64 v2, 0, 1, vcc
	v_bfe_u32 v8, v3, 20, 11
	v_and_or_b32 v2, v7, s16, v2
	v_sub_u32_e32 v9, 0x3f1, v8
	v_or_b32_e32 v7, 0x1000, v2
	v_med3_i32 v9, v9, 0, 13
	v_lshrrev_b32_e32 v10, v9, v7
	v_lshlrev_b32_e32 v9, v9, v10
	v_cmp_ne_u32_e32 vcc, v9, v7
	v_add_u32_e32 v8, 0xfffffc10, v8
	v_lshl_or_b32 v9, v8, 12, v2
	v_cndmask_b32_e64 v7, 0, 1, vcc
	v_or_b32_e32 v7, v10, v7
	v_cmp_gt_i32_e32 vcc, 1, v8
	v_mov_b32_e32 v22, 0x7c00
	s_movk_i32 s14, 0x40f
	v_cndmask_b32_e32 v7, v9, v7, vcc
	v_and_b32_e32 v9, 7, v7
	v_cmp_lt_i32_e32 vcc, 5, v9
	v_cmp_eq_u32_e64 s[0:1], 3, v9
	v_lshrrev_b32_e32 v7, 2, v7
	s_or_b64 vcc, s[0:1], vcc
	v_mul_f16_sdwa v9, v145, v12 dst_sel:DWORD dst_unused:UNUSED_PAD src0_sel:WORD_1 src1_sel:DWORD
	v_addc_co_u32_e32 v7, vcc, 0, v7, vcc
	v_fma_f16 v6, v145, v6, -v9
	v_cmp_gt_i32_e32 vcc, 31, v8
	v_cvt_f32_f16_e32 v6, v6
	s_mov_b32 s15, 0x8000
	v_cndmask_b32_e32 v7, v22, v7, vcc
	v_cmp_ne_u32_e32 vcc, 0, v2
	v_and_b32_sdwa v11, v3, s15 dst_sel:DWORD dst_unused:UNUSED_PAD src0_sel:WORD_1 src1_sel:DWORD
	s_mov_b32 s18, 0xffff
	v_cndmask_b32_e64 v2, 0, 1, vcc
	v_lshl_or_b32 v2, v2, 9, v22
	v_cmp_eq_u32_e32 vcc, s14, v8
	v_mov_b32_e32 v0, s10
	v_mov_b32_e32 v1, s11
	v_cndmask_b32_e32 v10, v7, v2, vcc
	v_cvt_f64_f32_e32 v[2:3], v6
	v_mul_f64 v[2:3], v[2:3], s[6:7]
	v_and_or_b32 v2, v3, s17, v2
	v_cmp_ne_u32_e32 vcc, 0, v2
	v_lshrrev_b32_e32 v6, 8, v3
	v_bfe_u32 v7, v3, 20, 11
	v_cndmask_b32_e64 v2, 0, 1, vcc
	v_and_or_b32 v2, v6, s16, v2
	v_sub_u32_e32 v8, 0x3f1, v7
	v_or_b32_e32 v6, 0x1000, v2
	v_med3_i32 v8, v8, 0, 13
	v_lshrrev_b32_e32 v9, v8, v6
	v_lshlrev_b32_e32 v8, v8, v9
	v_cmp_ne_u32_e32 vcc, v8, v6
	v_add_u32_e32 v7, 0xfffffc10, v7
	v_lshl_or_b32 v8, v7, 12, v2
	v_cndmask_b32_e64 v6, 0, 1, vcc
	v_or_b32_e32 v6, v9, v6
	v_cmp_gt_i32_e32 vcc, 1, v7
	v_lshrrev_b32_e32 v3, 16, v3
	v_lshl_add_u64 v[0:1], v[4:5], 2, v[0:1]
	v_cndmask_b32_e32 v6, v8, v6, vcc
	v_and_b32_e32 v8, 7, v6
	v_cmp_lt_i32_e32 vcc, 5, v8
	v_cmp_eq_u32_e64 s[0:1], 3, v8
	v_lshrrev_b32_e32 v6, 2, v6
	s_or_b64 vcc, s[0:1], vcc
	v_addc_co_u32_e32 v6, vcc, 0, v6, vcc
	v_cmp_gt_i32_e32 vcc, 31, v7
	ds_read2_b32 v[14:15], v85 offset0:176 offset1:236
	ds_read2_b32 v[16:17], v88 offset0:96 offset1:156
	v_cndmask_b32_e32 v6, v22, v6, vcc
	v_cmp_ne_u32_e32 vcc, 0, v2
	ds_read2_b32 v[18:19], v87 offset0:16 offset1:76
	s_mul_i32 s20, s5, 0x6c0
	v_cndmask_b32_e64 v2, 0, 1, vcc
	v_lshl_or_b32 v2, v2, 9, v22
	v_cmp_eq_u32_e32 vcc, s14, v7
	s_mul_i32 s10, s4, 0xfffff8a4
	s_movk_i32 s19, 0x1000
	v_cndmask_b32_e32 v2, v6, v2, vcc
	v_mad_u64_u32 v[6:7], s[0:1], s4, v72, 0
	v_and_or_b32 v12, v3, s15, v2
	v_mov_b32_e32 v2, v7
	v_mad_u64_u32 v[8:9], s[0:1], s5, v72, v[2:3]
	ds_read2_b32 v[2:3], v68 offset0:120 offset1:216
	v_mov_b32_e32 v7, v8
	v_bitop3_b32 v8, v11, s18, v10 bitop3:0xc8
	v_lshl_add_u64 v[4:5], v[6:7], 2, v[0:1]
	v_lshl_or_b32 v8, v12, 16, v8
	s_waitcnt lgkmcnt(0)
	v_lshrrev_b32_e32 v9, 16, v3
	v_mul_f16_sdwa v10, v144, v9 dst_sel:DWORD dst_unused:UNUSED_PAD src0_sel:WORD_1 src1_sel:DWORD
	v_fma_f16 v10, v144, v3, v10
	v_cvt_f32_f16_e32 v10, v10
	global_store_dword v[4:5], v8, off
	v_mul_f16_sdwa v3, v144, v3 dst_sel:DWORD dst_unused:UNUSED_PAD src0_sel:WORD_1 src1_sel:DWORD
	v_fma_f16 v3, v144, v9, -v3
	v_cvt_f64_f32_e32 v[6:7], v10
	v_mul_f64 v[6:7], v[6:7], s[6:7]
	v_and_or_b32 v6, v7, s17, v6
	v_cmp_ne_u32_e32 vcc, 0, v6
	v_lshrrev_b32_e32 v8, 8, v7
	v_bfe_u32 v10, v7, 20, 11
	v_cndmask_b32_e64 v6, 0, 1, vcc
	v_and_or_b32 v6, v8, s16, v6
	v_sub_u32_e32 v11, 0x3f1, v10
	v_or_b32_e32 v8, 0x1000, v6
	v_med3_i32 v11, v11, 0, 13
	v_lshrrev_b32_e32 v12, v11, v8
	v_lshlrev_b32_e32 v11, v11, v12
	v_cmp_ne_u32_e32 vcc, v11, v8
	v_add_u32_e32 v10, 0xfffffc10, v10
	v_lshl_or_b32 v11, v10, 12, v6
	v_cndmask_b32_e64 v8, 0, 1, vcc
	v_or_b32_e32 v8, v12, v8
	v_cmp_gt_i32_e32 vcc, 1, v10
	v_cvt_f32_f16_e32 v3, v3
	v_and_b32_sdwa v9, v7, s15 dst_sel:DWORD dst_unused:UNUSED_PAD src0_sel:WORD_1 src1_sel:DWORD
	v_cndmask_b32_e32 v8, v11, v8, vcc
	v_and_b32_e32 v11, 7, v8
	v_cmp_lt_i32_e32 vcc, 5, v11
	v_cmp_eq_u32_e64 s[0:1], 3, v11
	v_lshrrev_b32_e32 v8, 2, v8
	s_or_b64 vcc, s[0:1], vcc
	v_addc_co_u32_e32 v8, vcc, 0, v8, vcc
	v_cmp_gt_i32_e32 vcc, 31, v10
	s_nop 1
	v_cndmask_b32_e32 v8, v22, v8, vcc
	v_cmp_ne_u32_e32 vcc, 0, v6
	s_nop 1
	v_cndmask_b32_e64 v6, 0, 1, vcc
	v_lshl_or_b32 v6, v6, 9, v22
	v_cmp_eq_u32_e32 vcc, s14, v10
	s_nop 1
	v_cndmask_b32_e32 v8, v8, v6, vcc
	v_cvt_f64_f32_e32 v[6:7], v3
	v_mul_f64 v[6:7], v[6:7], s[6:7]
	v_and_or_b32 v3, v7, s17, v6
	v_cmp_ne_u32_e32 vcc, 0, v3
	v_lshrrev_b32_e32 v6, 8, v7
	v_bfe_u32 v10, v7, 20, 11
	v_cndmask_b32_e64 v3, 0, 1, vcc
	v_and_or_b32 v3, v6, s16, v3
	v_sub_u32_e32 v11, 0x3f1, v10
	v_or_b32_e32 v6, 0x1000, v3
	v_med3_i32 v11, v11, 0, 13
	v_lshrrev_b32_e32 v12, v11, v6
	v_lshlrev_b32_e32 v11, v11, v12
	v_cmp_ne_u32_e32 vcc, v11, v6
	v_add_u32_e32 v10, 0xfffffc10, v10
	v_lshl_or_b32 v11, v10, 12, v3
	v_cndmask_b32_e64 v6, 0, 1, vcc
	v_or_b32_e32 v6, v12, v6
	v_cmp_gt_i32_e32 vcc, 1, v10
	s_nop 1
	v_cndmask_b32_e32 v6, v11, v6, vcc
	v_and_b32_e32 v11, 7, v6
	v_cmp_lt_i32_e32 vcc, 5, v11
	v_cmp_eq_u32_e64 s[0:1], 3, v11
	v_lshrrev_b32_e32 v6, 2, v6
	s_or_b64 vcc, s[0:1], vcc
	v_addc_co_u32_e32 v6, vcc, 0, v6, vcc
	v_cmp_gt_i32_e32 vcc, 31, v10
	s_mul_i32 s0, s5, 0xd8
	s_mul_hi_u32 s1, s4, 0xd8
	v_cndmask_b32_e32 v6, v22, v6, vcc
	v_cmp_ne_u32_e32 vcc, 0, v3
	s_add_i32 s1, s1, s0
	s_mul_i32 s0, s4, 0xd8
	v_cndmask_b32_e64 v3, 0, 1, vcc
	v_lshl_or_b32 v3, v3, 9, v22
	v_cmp_eq_u32_e32 vcc, s14, v10
	s_lshl_b64 s[8:9], s[0:1], 2
	s_nop 0
	v_cndmask_b32_e32 v3, v6, v3, vcc
	v_lshrrev_b32_e32 v6, 16, v7
	v_and_or_b32 v3, v6, s15, v3
	v_bitop3_b32 v6, v9, s18, v8 bitop3:0xc8
	v_lshrrev_b32_e32 v8, 16, v14
	v_lshl_or_b32 v3, v3, 16, v6
	v_mul_f16_sdwa v6, v143, v8 dst_sel:DWORD dst_unused:UNUSED_PAD src0_sel:WORD_1 src1_sel:DWORD
	v_fma_f16 v6, v143, v14, v6
	v_cvt_f32_f16_e32 v9, v6
	v_lshl_add_u64 v[6:7], v[4:5], 0, s[8:9]
	global_store_dword v[6:7], v3, off
	v_lshl_add_u64 v[6:7], v[6:7], 0, s[8:9]
	v_cvt_f64_f32_e32 v[4:5], v9
	v_mul_f64 v[4:5], v[4:5], s[6:7]
	v_and_or_b32 v3, v5, s17, v4
	v_cmp_ne_u32_e32 vcc, 0, v3
	v_lshrrev_b32_e32 v4, 8, v5
	v_bfe_u32 v9, v5, 20, 11
	v_cndmask_b32_e64 v3, 0, 1, vcc
	v_and_or_b32 v3, v4, s16, v3
	v_sub_u32_e32 v10, 0x3f1, v9
	v_or_b32_e32 v4, 0x1000, v3
	v_med3_i32 v10, v10, 0, 13
	v_lshrrev_b32_e32 v11, v10, v4
	v_lshlrev_b32_e32 v10, v10, v11
	v_cmp_ne_u32_e32 vcc, v10, v4
	v_add_u32_e32 v9, 0xfffffc10, v9
	v_lshl_or_b32 v10, v9, 12, v3
	v_cndmask_b32_e64 v4, 0, 1, vcc
	v_or_b32_e32 v4, v11, v4
	v_cmp_gt_i32_e32 vcc, 1, v9
	s_nop 1
	v_cndmask_b32_e32 v4, v10, v4, vcc
	v_and_b32_e32 v10, 7, v4
	v_cmp_lt_i32_e32 vcc, 5, v10
	v_cmp_eq_u32_e64 s[0:1], 3, v10
	v_lshrrev_b32_e32 v4, 2, v4
	s_or_b64 vcc, s[0:1], vcc
	v_mul_f16_sdwa v10, v143, v14 dst_sel:DWORD dst_unused:UNUSED_PAD src0_sel:WORD_1 src1_sel:DWORD
	v_addc_co_u32_e32 v4, vcc, 0, v4, vcc
	v_fma_f16 v8, v143, v8, -v10
	v_cmp_gt_i32_e32 vcc, 31, v9
	v_cvt_f32_f16_e32 v8, v8
	v_and_b32_sdwa v10, v5, s15 dst_sel:DWORD dst_unused:UNUSED_PAD src0_sel:WORD_1 src1_sel:DWORD
	v_cndmask_b32_e32 v4, v22, v4, vcc
	v_cmp_ne_u32_e32 vcc, 0, v3
	s_nop 1
	v_cndmask_b32_e64 v3, 0, 1, vcc
	v_lshl_or_b32 v3, v3, 9, v22
	v_cmp_eq_u32_e32 vcc, s14, v9
	s_nop 1
	v_cndmask_b32_e32 v3, v4, v3, vcc
	v_cvt_f64_f32_e32 v[4:5], v8
	v_mul_f64 v[8:9], v[4:5], s[6:7]
	v_and_or_b32 v4, v9, s17, v8
	v_cmp_ne_u32_e32 vcc, 0, v4
	v_lshrrev_b32_e32 v5, 8, v9
	v_bfe_u32 v8, v9, 20, 11
	v_cndmask_b32_e64 v4, 0, 1, vcc
	v_and_or_b32 v4, v5, s16, v4
	v_sub_u32_e32 v11, 0x3f1, v8
	v_or_b32_e32 v5, 0x1000, v4
	v_med3_i32 v11, v11, 0, 13
	v_lshrrev_b32_e32 v12, v11, v5
	v_lshlrev_b32_e32 v11, v11, v12
	v_cmp_ne_u32_e32 vcc, v11, v5
	v_add_u32_e32 v8, 0xfffffc10, v8
	v_lshl_or_b32 v11, v8, 12, v4
	v_cndmask_b32_e64 v5, 0, 1, vcc
	v_or_b32_e32 v5, v12, v5
	v_cmp_gt_i32_e32 vcc, 1, v8
	v_lshrrev_b32_e32 v9, 16, v9
	v_bitop3_b32 v3, v10, s18, v3 bitop3:0xc8
	v_cndmask_b32_e32 v5, v11, v5, vcc
	v_and_b32_e32 v11, 7, v5
	v_cmp_lt_i32_e32 vcc, 5, v11
	v_cmp_eq_u32_e64 s[0:1], 3, v11
	v_lshrrev_b32_e32 v5, 2, v5
	s_or_b64 vcc, s[0:1], vcc
	v_addc_co_u32_e32 v5, vcc, 0, v5, vcc
	v_cmp_gt_i32_e32 vcc, 31, v8
	s_nop 1
	v_cndmask_b32_e32 v11, v22, v5, vcc
	v_cmp_ne_u32_e32 vcc, 0, v4
	s_nop 1
	v_cndmask_b32_e64 v4, 0, 1, vcc
	v_lshl_or_b32 v12, v4, 9, v22
	ds_read2_b32 v[4:5], v89 offset0:40 offset1:136
	v_cmp_eq_u32_e32 vcc, s14, v8
	s_waitcnt lgkmcnt(0)
	v_lshrrev_b32_e32 v10, 16, v5
	v_cndmask_b32_e32 v8, v11, v12, vcc
	v_and_or_b32 v8, v9, s15, v8
	v_mul_f16_sdwa v9, v141, v10 dst_sel:DWORD dst_unused:UNUSED_PAD src0_sel:WORD_1 src1_sel:DWORD
	v_fma_f16 v9, v141, v5, v9
	v_cvt_f32_f16_e32 v9, v9
	v_lshl_or_b32 v3, v8, 16, v3
	global_store_dword v[6:7], v3, off
	v_mul_f16_sdwa v5, v141, v5 dst_sel:DWORD dst_unused:UNUSED_PAD src0_sel:WORD_1 src1_sel:DWORD
	v_cvt_f64_f32_e32 v[8:9], v9
	v_mul_f64 v[8:9], v[8:9], s[6:7]
	v_and_or_b32 v3, v9, s17, v8
	v_cmp_ne_u32_e32 vcc, 0, v3
	v_lshrrev_b32_e32 v8, 8, v9
	v_bfe_u32 v11, v9, 20, 11
	v_cndmask_b32_e64 v3, 0, 1, vcc
	v_and_or_b32 v3, v8, s16, v3
	v_sub_u32_e32 v12, 0x3f1, v11
	v_or_b32_e32 v8, 0x1000, v3
	v_med3_i32 v12, v12, 0, 13
	v_lshrrev_b32_e32 v14, v12, v8
	v_lshlrev_b32_e32 v12, v12, v14
	v_cmp_ne_u32_e32 vcc, v12, v8
	v_add_u32_e32 v11, 0xfffffc10, v11
	v_lshl_or_b32 v12, v11, 12, v3
	v_cndmask_b32_e64 v8, 0, 1, vcc
	v_or_b32_e32 v8, v14, v8
	v_cmp_gt_i32_e32 vcc, 1, v11
	v_fma_f16 v5, v141, v10, -v5
	v_cvt_f32_f16_e32 v5, v5
	v_cndmask_b32_e32 v8, v12, v8, vcc
	v_and_b32_e32 v12, 7, v8
	v_cmp_lt_i32_e32 vcc, 5, v12
	v_cmp_eq_u32_e64 s[0:1], 3, v12
	v_lshrrev_b32_e32 v8, 2, v8
	s_or_b64 vcc, s[0:1], vcc
	v_addc_co_u32_e32 v8, vcc, 0, v8, vcc
	v_cmp_gt_i32_e32 vcc, 31, v11
	v_and_b32_sdwa v10, v9, s15 dst_sel:DWORD dst_unused:UNUSED_PAD src0_sel:WORD_1 src1_sel:DWORD
	s_nop 0
	v_cndmask_b32_e32 v8, v22, v8, vcc
	v_cmp_ne_u32_e32 vcc, 0, v3
	s_nop 1
	v_cndmask_b32_e64 v3, 0, 1, vcc
	v_lshl_or_b32 v3, v3, 9, v22
	v_cmp_eq_u32_e32 vcc, s14, v11
	s_nop 1
	v_cndmask_b32_e32 v3, v8, v3, vcc
	v_cvt_f64_f32_e32 v[8:9], v5
	v_mul_f64 v[8:9], v[8:9], s[6:7]
	v_and_or_b32 v5, v9, s17, v8
	v_cmp_ne_u32_e32 vcc, 0, v5
	v_lshrrev_b32_e32 v8, 8, v9
	v_bfe_u32 v11, v9, 20, 11
	v_cndmask_b32_e64 v5, 0, 1, vcc
	v_and_or_b32 v5, v8, s16, v5
	v_sub_u32_e32 v12, 0x3f1, v11
	v_or_b32_e32 v8, 0x1000, v5
	v_med3_i32 v12, v12, 0, 13
	v_lshrrev_b32_e32 v14, v12, v8
	v_lshlrev_b32_e32 v12, v12, v14
	v_cmp_ne_u32_e32 vcc, v12, v8
	v_add_u32_e32 v11, 0xfffffc10, v11
	v_lshl_or_b32 v12, v11, 12, v5
	v_cndmask_b32_e64 v8, 0, 1, vcc
	v_or_b32_e32 v8, v14, v8
	v_cmp_gt_i32_e32 vcc, 1, v11
	v_bitop3_b32 v3, v10, s18, v3 bitop3:0xc8
	v_lshrrev_b32_e32 v10, 16, v16
	v_cndmask_b32_e32 v8, v12, v8, vcc
	v_and_b32_e32 v12, 7, v8
	v_cmp_lt_i32_e32 vcc, 5, v12
	v_cmp_eq_u32_e64 s[0:1], 3, v12
	v_lshrrev_b32_e32 v8, 2, v8
	s_or_b64 vcc, s[0:1], vcc
	v_addc_co_u32_e32 v8, vcc, 0, v8, vcc
	v_cmp_gt_i32_e32 vcc, 31, v11
	s_nop 1
	v_cndmask_b32_e32 v8, v22, v8, vcc
	v_cmp_ne_u32_e32 vcc, 0, v5
	s_nop 1
	v_cndmask_b32_e64 v5, 0, 1, vcc
	v_lshl_or_b32 v5, v5, 9, v22
	v_cmp_eq_u32_e32 vcc, s14, v11
	s_nop 1
	v_cndmask_b32_e32 v5, v8, v5, vcc
	v_lshrrev_b32_e32 v8, 16, v9
	v_and_or_b32 v5, v8, s15, v5
	v_mul_f16_sdwa v8, v140, v10 dst_sel:DWORD dst_unused:UNUSED_PAD src0_sel:WORD_1 src1_sel:DWORD
	v_fma_f16 v8, v140, v16, v8
	v_cvt_f32_f16_e32 v11, v8
	v_lshl_add_u64 v[8:9], v[6:7], 0, s[8:9]
	v_lshl_or_b32 v3, v5, 16, v3
	global_store_dword v[8:9], v3, off
	v_cvt_f64_f32_e32 v[6:7], v11
	v_mul_f64 v[6:7], v[6:7], s[6:7]
	v_and_or_b32 v3, v7, s17, v6
	v_cmp_ne_u32_e32 vcc, 0, v3
	v_lshrrev_b32_e32 v5, 8, v7
	v_bfe_u32 v6, v7, 20, 11
	v_cndmask_b32_e64 v3, 0, 1, vcc
	v_and_or_b32 v3, v5, s16, v3
	v_sub_u32_e32 v11, 0x3f1, v6
	v_or_b32_e32 v5, 0x1000, v3
	v_med3_i32 v11, v11, 0, 13
	v_lshrrev_b32_e32 v12, v11, v5
	v_lshlrev_b32_e32 v11, v11, v12
	v_cmp_ne_u32_e32 vcc, v11, v5
	v_add_u32_e32 v6, 0xfffffc10, v6
	v_lshl_or_b32 v11, v6, 12, v3
	v_cndmask_b32_e64 v5, 0, 1, vcc
	v_or_b32_e32 v5, v12, v5
	v_cmp_gt_i32_e32 vcc, 1, v6
	v_lshl_add_u64 v[8:9], v[8:9], 0, s[8:9]
	s_nop 0
	v_cndmask_b32_e32 v5, v11, v5, vcc
	v_and_b32_e32 v11, 7, v5
	v_cmp_lt_i32_e32 vcc, 5, v11
	v_cmp_eq_u32_e64 s[0:1], 3, v11
	v_lshrrev_b32_e32 v5, 2, v5
	s_or_b64 vcc, s[0:1], vcc
	v_mul_f16_sdwa v11, v140, v16 dst_sel:DWORD dst_unused:UNUSED_PAD src0_sel:WORD_1 src1_sel:DWORD
	v_addc_co_u32_e32 v5, vcc, 0, v5, vcc
	v_fma_f16 v10, v140, v10, -v11
	v_cmp_gt_i32_e32 vcc, 31, v6
	v_cvt_f32_f16_e32 v10, v10
	s_nop 0
	v_cndmask_b32_e32 v5, v22, v5, vcc
	v_cmp_ne_u32_e32 vcc, 0, v3
	s_nop 1
	v_cndmask_b32_e64 v3, 0, 1, vcc
	v_lshl_or_b32 v3, v3, 9, v22
	v_cmp_eq_u32_e32 vcc, s14, v6
	s_nop 1
	v_cndmask_b32_e32 v3, v5, v3, vcc
	v_and_b32_sdwa v5, v7, s15 dst_sel:DWORD dst_unused:UNUSED_PAD src0_sel:WORD_1 src1_sel:DWORD
	v_cvt_f64_f32_e32 v[6:7], v10
	v_mul_f64 v[10:11], v[6:7], s[6:7]
	v_and_or_b32 v6, v11, s17, v10
	v_cmp_ne_u32_e32 vcc, 0, v6
	v_lshrrev_b32_e32 v7, 8, v11
	v_bfe_u32 v10, v11, 20, 11
	v_cndmask_b32_e64 v6, 0, 1, vcc
	v_and_or_b32 v6, v7, s16, v6
	v_sub_u32_e32 v12, 0x3f1, v10
	v_or_b32_e32 v7, 0x1000, v6
	v_med3_i32 v12, v12, 0, 13
	v_lshrrev_b32_e32 v14, v12, v7
	v_lshlrev_b32_e32 v12, v12, v14
	v_cmp_ne_u32_e32 vcc, v12, v7
	v_add_u32_e32 v10, 0xfffffc10, v10
	v_lshl_or_b32 v12, v10, 12, v6
	v_cndmask_b32_e64 v7, 0, 1, vcc
	v_or_b32_e32 v7, v14, v7
	v_cmp_gt_i32_e32 vcc, 1, v10
	v_lshrrev_b32_e32 v11, 16, v11
	v_bitop3_b32 v3, v5, s18, v3 bitop3:0xc8
	v_cndmask_b32_e32 v7, v12, v7, vcc
	v_and_b32_e32 v12, 7, v7
	v_cmp_lt_i32_e32 vcc, 5, v12
	v_cmp_eq_u32_e64 s[0:1], 3, v12
	v_lshrrev_b32_e32 v7, 2, v7
	s_or_b64 vcc, s[0:1], vcc
	v_addc_co_u32_e32 v7, vcc, 0, v7, vcc
	v_cmp_gt_i32_e32 vcc, 31, v10
	s_nop 1
	v_cndmask_b32_e32 v12, v22, v7, vcc
	v_cmp_ne_u32_e32 vcc, 0, v6
	s_nop 1
	v_cndmask_b32_e64 v6, 0, 1, vcc
	v_lshl_or_b32 v14, v6, 9, v22
	v_add_u32_e32 v6, 0xe00, v68
	ds_read2_b32 v[6:7], v6 offset0:88 offset1:184
	v_cmp_eq_u32_e32 vcc, s14, v10
	s_waitcnt lgkmcnt(0)
	v_lshrrev_b32_e32 v5, 16, v7
	v_cndmask_b32_e32 v10, v12, v14, vcc
	v_and_or_b32 v10, v11, s15, v10
	v_mul_f16_sdwa v11, v142, v5 dst_sel:DWORD dst_unused:UNUSED_PAD src0_sel:WORD_1 src1_sel:DWORD
	v_fma_f16 v11, v142, v7, v11
	v_cvt_f32_f16_e32 v11, v11
	v_lshl_or_b32 v3, v10, 16, v3
	global_store_dword v[8:9], v3, off
	v_mul_f16_sdwa v7, v142, v7 dst_sel:DWORD dst_unused:UNUSED_PAD src0_sel:WORD_1 src1_sel:DWORD
	v_cvt_f64_f32_e32 v[10:11], v11
	v_mul_f64 v[10:11], v[10:11], s[6:7]
	v_and_or_b32 v3, v11, s17, v10
	v_cmp_ne_u32_e32 vcc, 0, v3
	v_lshrrev_b32_e32 v10, 8, v11
	v_bfe_u32 v12, v11, 20, 11
	v_cndmask_b32_e64 v3, 0, 1, vcc
	v_and_or_b32 v3, v10, s16, v3
	v_sub_u32_e32 v14, 0x3f1, v12
	v_or_b32_e32 v10, 0x1000, v3
	v_med3_i32 v14, v14, 0, 13
	v_lshrrev_b32_e32 v16, v14, v10
	v_lshlrev_b32_e32 v14, v14, v16
	v_cmp_ne_u32_e32 vcc, v14, v10
	v_add_u32_e32 v12, 0xfffffc10, v12
	v_lshl_or_b32 v14, v12, 12, v3
	v_cndmask_b32_e64 v10, 0, 1, vcc
	v_or_b32_e32 v10, v16, v10
	v_cmp_gt_i32_e32 vcc, 1, v12
	v_fma_f16 v5, v142, v5, -v7
	v_cvt_f32_f16_e32 v5, v5
	v_cndmask_b32_e32 v10, v14, v10, vcc
	v_and_b32_e32 v14, 7, v10
	v_cmp_lt_i32_e32 vcc, 5, v14
	v_cmp_eq_u32_e64 s[0:1], 3, v14
	v_lshrrev_b32_e32 v10, 2, v10
	s_or_b64 vcc, s[0:1], vcc
	v_addc_co_u32_e32 v10, vcc, 0, v10, vcc
	v_cmp_gt_i32_e32 vcc, 31, v12
	v_and_b32_sdwa v7, v11, s15 dst_sel:DWORD dst_unused:UNUSED_PAD src0_sel:WORD_1 src1_sel:DWORD
	s_nop 0
	v_cndmask_b32_e32 v10, v22, v10, vcc
	v_cmp_ne_u32_e32 vcc, 0, v3
	s_nop 1
	v_cndmask_b32_e64 v3, 0, 1, vcc
	v_lshl_or_b32 v3, v3, 9, v22
	v_cmp_eq_u32_e32 vcc, s14, v12
	s_nop 1
	v_cndmask_b32_e32 v3, v10, v3, vcc
	v_cvt_f64_f32_e32 v[10:11], v5
	v_mul_f64 v[10:11], v[10:11], s[6:7]
	v_and_or_b32 v5, v11, s17, v10
	v_cmp_ne_u32_e32 vcc, 0, v5
	v_lshrrev_b32_e32 v10, 8, v11
	v_bfe_u32 v12, v11, 20, 11
	v_cndmask_b32_e64 v5, 0, 1, vcc
	v_and_or_b32 v5, v10, s16, v5
	v_sub_u32_e32 v14, 0x3f1, v12
	v_or_b32_e32 v10, 0x1000, v5
	v_med3_i32 v14, v14, 0, 13
	v_lshrrev_b32_e32 v16, v14, v10
	v_lshlrev_b32_e32 v14, v14, v16
	v_cmp_ne_u32_e32 vcc, v14, v10
	v_add_u32_e32 v12, 0xfffffc10, v12
	v_lshl_or_b32 v14, v12, 12, v5
	v_cndmask_b32_e64 v10, 0, 1, vcc
	v_or_b32_e32 v10, v16, v10
	v_cmp_gt_i32_e32 vcc, 1, v12
	v_bitop3_b32 v3, v7, s18, v3 bitop3:0xc8
	v_lshrrev_b32_e32 v7, 16, v18
	v_cndmask_b32_e32 v10, v14, v10, vcc
	v_and_b32_e32 v14, 7, v10
	v_cmp_lt_i32_e32 vcc, 5, v14
	v_cmp_eq_u32_e64 s[0:1], 3, v14
	v_lshrrev_b32_e32 v10, 2, v10
	s_or_b64 vcc, s[0:1], vcc
	v_addc_co_u32_e32 v10, vcc, 0, v10, vcc
	v_cmp_gt_i32_e32 vcc, 31, v12
	s_nop 1
	v_cndmask_b32_e32 v10, v22, v10, vcc
	v_cmp_ne_u32_e32 vcc, 0, v5
	s_nop 1
	v_cndmask_b32_e64 v5, 0, 1, vcc
	v_lshl_or_b32 v5, v5, 9, v22
	v_cmp_eq_u32_e32 vcc, s14, v12
	s_nop 1
	v_cndmask_b32_e32 v5, v10, v5, vcc
	v_lshrrev_b32_e32 v10, 16, v11
	v_and_or_b32 v5, v10, s15, v5
	v_mul_f16_sdwa v10, v139, v7 dst_sel:DWORD dst_unused:UNUSED_PAD src0_sel:WORD_1 src1_sel:DWORD
	v_fma_f16 v10, v139, v18, v10
	v_cvt_f32_f16_e32 v12, v10
	v_lshl_add_u64 v[10:11], v[8:9], 0, s[8:9]
	v_lshl_or_b32 v3, v5, 16, v3
	global_store_dword v[10:11], v3, off
	v_cvt_f64_f32_e32 v[8:9], v12
	v_mul_f64 v[8:9], v[8:9], s[6:7]
	v_and_or_b32 v3, v9, s17, v8
	v_cmp_ne_u32_e32 vcc, 0, v3
	v_lshrrev_b32_e32 v5, 8, v9
	v_bfe_u32 v8, v9, 20, 11
	v_cndmask_b32_e64 v3, 0, 1, vcc
	v_and_or_b32 v3, v5, s16, v3
	v_sub_u32_e32 v12, 0x3f1, v8
	v_or_b32_e32 v5, 0x1000, v3
	v_med3_i32 v12, v12, 0, 13
	v_lshrrev_b32_e32 v14, v12, v5
	v_lshlrev_b32_e32 v12, v12, v14
	v_cmp_ne_u32_e32 vcc, v12, v5
	v_add_u32_e32 v8, 0xfffffc10, v8
	v_lshl_or_b32 v12, v8, 12, v3
	v_cndmask_b32_e64 v5, 0, 1, vcc
	v_or_b32_e32 v5, v14, v5
	v_cmp_gt_i32_e32 vcc, 1, v8
	v_lshl_add_u64 v[10:11], v[10:11], 0, s[8:9]
	s_nop 0
	v_cndmask_b32_e32 v5, v12, v5, vcc
	v_and_b32_e32 v12, 7, v5
	v_cmp_lt_i32_e32 vcc, 5, v12
	v_cmp_eq_u32_e64 s[0:1], 3, v12
	v_lshrrev_b32_e32 v5, 2, v5
	s_or_b64 vcc, s[0:1], vcc
	v_mul_f16_sdwa v12, v139, v18 dst_sel:DWORD dst_unused:UNUSED_PAD src0_sel:WORD_1 src1_sel:DWORD
	v_addc_co_u32_e32 v5, vcc, 0, v5, vcc
	v_fma_f16 v7, v139, v7, -v12
	v_cmp_gt_i32_e32 vcc, 31, v8
	v_cvt_f32_f16_e32 v7, v7
	s_nop 0
	v_cndmask_b32_e32 v5, v22, v5, vcc
	v_cmp_ne_u32_e32 vcc, 0, v3
	s_nop 1
	v_cndmask_b32_e64 v3, 0, 1, vcc
	v_lshl_or_b32 v3, v3, 9, v22
	v_cmp_eq_u32_e32 vcc, s14, v8
	s_nop 1
	v_cndmask_b32_e32 v3, v5, v3, vcc
	v_and_b32_sdwa v5, v9, s15 dst_sel:DWORD dst_unused:UNUSED_PAD src0_sel:WORD_1 src1_sel:DWORD
	v_cvt_f64_f32_e32 v[8:9], v7
	v_mul_f64 v[20:21], v[8:9], s[6:7]
	v_and_or_b32 v7, v21, s17, v20
	v_cmp_ne_u32_e32 vcc, 0, v7
	v_lshrrev_b32_e32 v8, 8, v21
	v_bfe_u32 v9, v21, 20, 11
	v_cndmask_b32_e64 v7, 0, 1, vcc
	v_and_or_b32 v7, v8, s16, v7
	v_sub_u32_e32 v12, 0x3f1, v9
	v_or_b32_e32 v8, 0x1000, v7
	v_med3_i32 v12, v12, 0, 13
	v_lshrrev_b32_e32 v14, v12, v8
	v_lshlrev_b32_e32 v12, v12, v14
	v_cmp_ne_u32_e32 vcc, v12, v8
	v_add_u32_e32 v12, 0xfffffc10, v9
	v_lshl_or_b32 v9, v12, 12, v7
	v_cndmask_b32_e64 v8, 0, 1, vcc
	v_or_b32_e32 v8, v14, v8
	v_cmp_gt_i32_e32 vcc, 1, v12
	v_bitop3_b32 v3, v5, s18, v3 bitop3:0xc8
	s_nop 0
	v_cndmask_b32_e32 v8, v9, v8, vcc
	v_and_b32_e32 v9, 7, v8
	v_cmp_lt_i32_e32 vcc, 5, v9
	v_cmp_eq_u32_e64 s[0:1], 3, v9
	v_lshrrev_b32_e32 v8, 2, v8
	s_or_b64 vcc, s[0:1], vcc
	v_addc_co_u32_e32 v8, vcc, 0, v8, vcc
	v_cmp_gt_i32_e32 vcc, 31, v12
	s_nop 1
	v_cndmask_b32_e32 v14, v22, v8, vcc
	ds_read2_b32 v[8:9], v87 offset0:136 offset1:232
	v_cmp_ne_u32_e32 vcc, 0, v7
	s_waitcnt lgkmcnt(0)
	v_lshrrev_b32_e32 v5, 16, v9
	v_cndmask_b32_e64 v7, 0, 1, vcc
	v_lshl_or_b32 v7, v7, 9, v22
	v_cmp_eq_u32_e32 vcc, s14, v12
	v_lshrrev_b32_e32 v12, 16, v21
	s_nop 0
	v_cndmask_b32_e32 v7, v14, v7, vcc
	v_and_or_b32 v7, v12, s15, v7
	v_mul_f16_sdwa v12, v138, v5 dst_sel:DWORD dst_unused:UNUSED_PAD src0_sel:WORD_1 src1_sel:DWORD
	v_fma_f16 v12, v138, v9, v12
	v_cvt_f32_f16_e32 v12, v12
	v_lshl_or_b32 v3, v7, 16, v3
	global_store_dword v[10:11], v3, off
	v_mul_f16_sdwa v9, v138, v9 dst_sel:DWORD dst_unused:UNUSED_PAD src0_sel:WORD_1 src1_sel:DWORD
	v_cvt_f64_f32_e32 v[20:21], v12
	v_mul_f64 v[20:21], v[20:21], s[6:7]
	v_and_or_b32 v3, v21, s17, v20
	v_cmp_ne_u32_e32 vcc, 0, v3
	v_lshrrev_b32_e32 v7, 8, v21
	v_bfe_u32 v12, v21, 20, 11
	v_cndmask_b32_e64 v3, 0, 1, vcc
	v_and_or_b32 v3, v7, s16, v3
	v_sub_u32_e32 v14, 0x3f1, v12
	v_or_b32_e32 v7, 0x1000, v3
	v_med3_i32 v14, v14, 0, 13
	v_lshrrev_b32_e32 v16, v14, v7
	v_lshlrev_b32_e32 v14, v14, v16
	v_cmp_ne_u32_e32 vcc, v14, v7
	v_add_u32_e32 v12, 0xfffffc10, v12
	v_lshl_or_b32 v14, v12, 12, v3
	v_cndmask_b32_e64 v7, 0, 1, vcc
	v_or_b32_e32 v7, v16, v7
	v_cmp_gt_i32_e32 vcc, 1, v12
	v_fma_f16 v5, v138, v5, -v9
	v_cvt_f32_f16_e32 v5, v5
	v_cndmask_b32_e32 v7, v14, v7, vcc
	v_and_b32_e32 v14, 7, v7
	v_cmp_lt_i32_e32 vcc, 5, v14
	v_cmp_eq_u32_e64 s[0:1], 3, v14
	v_lshrrev_b32_e32 v7, 2, v7
	s_or_b64 vcc, s[0:1], vcc
	v_addc_co_u32_e32 v7, vcc, 0, v7, vcc
	v_cmp_gt_i32_e32 vcc, 31, v12
	s_nop 1
	v_cndmask_b32_e32 v7, v22, v7, vcc
	v_cmp_ne_u32_e32 vcc, 0, v3
	s_nop 1
	v_cndmask_b32_e64 v3, 0, 1, vcc
	v_lshl_or_b32 v3, v3, 9, v22
	v_cmp_eq_u32_e32 vcc, s14, v12
	s_nop 1
	v_cndmask_b32_e32 v3, v7, v3, vcc
	v_and_b32_sdwa v7, v21, s15 dst_sel:DWORD dst_unused:UNUSED_PAD src0_sel:WORD_1 src1_sel:DWORD
	v_cvt_f64_f32_e32 v[20:21], v5
	v_mul_f64 v[24:25], v[20:21], s[6:7]
	v_and_or_b32 v5, v25, s17, v24
	v_cmp_ne_u32_e32 vcc, 0, v5
	v_lshrrev_b32_e32 v9, 8, v25
	v_bfe_u32 v12, v25, 20, 11
	v_cndmask_b32_e64 v5, 0, 1, vcc
	v_and_or_b32 v5, v9, s16, v5
	v_sub_u32_e32 v14, 0x3f1, v12
	v_or_b32_e32 v9, 0x1000, v5
	v_med3_i32 v14, v14, 0, 13
	v_lshrrev_b32_e32 v16, v14, v9
	v_lshlrev_b32_e32 v14, v14, v16
	v_cmp_ne_u32_e32 vcc, v14, v9
	v_add_u32_e32 v12, 0xfffffc10, v12
	v_lshl_or_b32 v14, v12, 12, v5
	v_cndmask_b32_e64 v9, 0, 1, vcc
	v_or_b32_e32 v9, v16, v9
	v_cmp_gt_i32_e32 vcc, 1, v12
	ds_read2_b32 v[20:21], v83 offset0:192 offset1:252
	v_bitop3_b32 v3, v7, s18, v3 bitop3:0xc8
	v_cndmask_b32_e32 v9, v14, v9, vcc
	v_and_b32_e32 v14, 7, v9
	v_cmp_lt_i32_e32 vcc, 5, v14
	v_cmp_eq_u32_e64 s[0:1], 3, v14
	v_lshrrev_b32_e32 v9, 2, v9
	s_or_b64 vcc, s[0:1], vcc
	v_addc_co_u32_e32 v9, vcc, 0, v9, vcc
	v_cmp_gt_i32_e32 vcc, 31, v12
	s_waitcnt lgkmcnt(0)
	v_lshrrev_b32_e32 v7, 16, v20
	v_cndmask_b32_e32 v9, v22, v9, vcc
	v_cmp_ne_u32_e32 vcc, 0, v5
	s_nop 1
	v_cndmask_b32_e64 v5, 0, 1, vcc
	v_lshl_or_b32 v5, v5, 9, v22
	v_cmp_eq_u32_e32 vcc, s14, v12
	s_nop 1
	v_cndmask_b32_e32 v5, v9, v5, vcc
	v_lshrrev_b32_e32 v9, 16, v25
	v_and_or_b32 v5, v9, s15, v5
	v_mul_f16_sdwa v9, v136, v7 dst_sel:DWORD dst_unused:UNUSED_PAD src0_sel:WORD_1 src1_sel:DWORD
	v_fma_f16 v9, v136, v20, v9
	v_cvt_f32_f16_e32 v9, v9
	v_lshl_add_u64 v[24:25], v[10:11], 0, s[8:9]
	v_lshl_or_b32 v3, v5, 16, v3
	global_store_dword v[24:25], v3, off
	v_cvt_f64_f32_e32 v[10:11], v9
	v_mul_f64 v[10:11], v[10:11], s[6:7]
	v_and_or_b32 v3, v11, s17, v10
	v_cmp_ne_u32_e32 vcc, 0, v3
	v_lshrrev_b32_e32 v5, 8, v11
	v_bfe_u32 v9, v11, 20, 11
	v_cndmask_b32_e64 v3, 0, 1, vcc
	v_and_or_b32 v3, v5, s16, v3
	v_sub_u32_e32 v10, 0x3f1, v9
	v_or_b32_e32 v5, 0x1000, v3
	v_med3_i32 v10, v10, 0, 13
	v_lshrrev_b32_e32 v12, v10, v5
	v_lshlrev_b32_e32 v10, v10, v12
	v_cmp_ne_u32_e32 vcc, v10, v5
	v_add_u32_e32 v9, 0xfffffc10, v9
	v_lshl_or_b32 v10, v9, 12, v3
	v_cndmask_b32_e64 v5, 0, 1, vcc
	v_or_b32_e32 v5, v12, v5
	v_cmp_gt_i32_e32 vcc, 1, v9
	s_nop 1
	v_cndmask_b32_e32 v5, v10, v5, vcc
	v_and_b32_e32 v10, 7, v5
	v_cmp_lt_i32_e32 vcc, 5, v10
	v_cmp_eq_u32_e64 s[0:1], 3, v10
	v_lshrrev_b32_e32 v5, 2, v5
	s_or_b64 vcc, s[0:1], vcc
	v_mul_f16_sdwa v10, v136, v20 dst_sel:DWORD dst_unused:UNUSED_PAD src0_sel:WORD_1 src1_sel:DWORD
	v_addc_co_u32_e32 v5, vcc, 0, v5, vcc
	v_fma_f16 v7, v136, v7, -v10
	v_cmp_gt_i32_e32 vcc, 31, v9
	v_cvt_f32_f16_e32 v7, v7
	s_nop 0
	v_cndmask_b32_e32 v5, v22, v5, vcc
	v_cmp_ne_u32_e32 vcc, 0, v3
	s_nop 1
	v_cndmask_b32_e64 v3, 0, 1, vcc
	v_lshl_or_b32 v3, v3, 9, v22
	v_cmp_eq_u32_e32 vcc, s14, v9
	s_nop 1
	v_cndmask_b32_e32 v3, v5, v3, vcc
	v_and_b32_sdwa v5, v11, s15 dst_sel:DWORD dst_unused:UNUSED_PAD src0_sel:WORD_1 src1_sel:DWORD
	v_cvt_f64_f32_e32 v[10:11], v7
	v_mul_f64 v[10:11], v[10:11], s[6:7]
	v_and_or_b32 v7, v11, s17, v10
	v_cmp_ne_u32_e32 vcc, 0, v7
	v_lshrrev_b32_e32 v9, 8, v11
	v_bfe_u32 v10, v11, 20, 11
	v_cndmask_b32_e64 v7, 0, 1, vcc
	v_and_or_b32 v7, v9, s16, v7
	v_sub_u32_e32 v12, 0x3f1, v10
	v_or_b32_e32 v9, 0x1000, v7
	v_med3_i32 v12, v12, 0, 13
	v_lshrrev_b32_e32 v14, v12, v9
	v_lshlrev_b32_e32 v12, v12, v14
	v_cmp_ne_u32_e32 vcc, v12, v9
	v_add_u32_e32 v10, 0xfffffc10, v10
	v_lshl_or_b32 v12, v10, 12, v7
	v_cndmask_b32_e64 v9, 0, 1, vcc
	v_or_b32_e32 v9, v14, v9
	v_cmp_gt_i32_e32 vcc, 1, v10
	v_bitop3_b32 v3, v5, s18, v3 bitop3:0xc8
	s_nop 0
	v_cndmask_b32_e32 v9, v12, v9, vcc
	v_and_b32_e32 v12, 7, v9
	v_cmp_lt_i32_e32 vcc, 5, v12
	v_cmp_eq_u32_e64 s[0:1], 3, v12
	v_lshrrev_b32_e32 v9, 2, v9
	s_or_b64 vcc, s[0:1], vcc
	v_addc_co_u32_e32 v9, vcc, 0, v9, vcc
	v_cmp_gt_i32_e32 vcc, 31, v10
	v_mad_u64_u32 v[26:27], s[0:1], s4, v135, 0
	s_nop 0
	v_cndmask_b32_e32 v9, v22, v9, vcc
	v_cmp_ne_u32_e32 vcc, 0, v7
	v_mov_b32_e32 v12, v27
	v_mad_u64_u32 v[28:29], s[0:1], s5, v135, v[12:13]
	v_cndmask_b32_e64 v7, 0, 1, vcc
	v_lshl_or_b32 v7, v7, 9, v22
	v_cmp_eq_u32_e32 vcc, s14, v10
	v_mov_b32_e32 v27, v28
	v_lshl_add_u64 v[26:27], v[26:27], 2, v[0:1]
	v_cndmask_b32_e32 v7, v9, v7, vcc
	v_lshrrev_b32_e32 v9, 16, v11
	ds_read2_b32 v[10:11], v86 offset0:56 offset1:152
	v_and_or_b32 v7, v9, s15, v7
	v_lshl_or_b32 v3, v7, 16, v3
	global_store_dword v[26:27], v3, off
	s_waitcnt lgkmcnt(0)
	v_lshrrev_b32_e32 v5, 16, v11
	v_mul_f16_sdwa v9, v137, v5 dst_sel:DWORD dst_unused:UNUSED_PAD src0_sel:WORD_1 src1_sel:DWORD
	v_fma_f16 v9, v137, v11, v9
	v_cvt_f32_f16_e32 v9, v9
	v_mul_f16_sdwa v11, v137, v11 dst_sel:DWORD dst_unused:UNUSED_PAD src0_sel:WORD_1 src1_sel:DWORD
	v_fma_f16 v5, v137, v5, -v11
	v_cvt_f32_f16_e32 v5, v5
	v_cvt_f64_f32_e32 v[26:27], v9
	v_mul_f64 v[26:27], v[26:27], s[6:7]
	v_and_or_b32 v3, v27, s17, v26
	v_cmp_ne_u32_e32 vcc, 0, v3
	v_lshrrev_b32_e32 v7, 8, v27
	v_bfe_u32 v9, v27, 20, 11
	v_cndmask_b32_e64 v3, 0, 1, vcc
	v_and_or_b32 v3, v7, s16, v3
	v_sub_u32_e32 v12, 0x3f1, v9
	v_or_b32_e32 v7, 0x1000, v3
	v_med3_i32 v12, v12, 0, 13
	v_lshrrev_b32_e32 v14, v12, v7
	v_lshlrev_b32_e32 v12, v12, v14
	v_cmp_ne_u32_e32 vcc, v12, v7
	v_add_u32_e32 v9, 0xfffffc10, v9
	v_lshl_or_b32 v12, v9, 12, v3
	v_cndmask_b32_e64 v7, 0, 1, vcc
	v_or_b32_e32 v7, v14, v7
	v_cmp_gt_i32_e32 vcc, 1, v9
	s_nop 1
	v_cndmask_b32_e32 v7, v12, v7, vcc
	v_and_b32_e32 v12, 7, v7
	v_cmp_lt_i32_e32 vcc, 5, v12
	v_cmp_eq_u32_e64 s[0:1], 3, v12
	v_lshrrev_b32_e32 v7, 2, v7
	s_or_b64 vcc, s[0:1], vcc
	v_addc_co_u32_e32 v7, vcc, 0, v7, vcc
	v_cmp_gt_i32_e32 vcc, 31, v9
	s_nop 1
	v_cndmask_b32_e32 v7, v22, v7, vcc
	v_cmp_ne_u32_e32 vcc, 0, v3
	s_nop 1
	v_cndmask_b32_e64 v3, 0, 1, vcc
	v_lshl_or_b32 v3, v3, 9, v22
	v_cmp_eq_u32_e32 vcc, s14, v9
	s_nop 1
	v_cndmask_b32_e32 v3, v7, v3, vcc
	v_and_b32_sdwa v7, v27, s15 dst_sel:DWORD dst_unused:UNUSED_PAD src0_sel:WORD_1 src1_sel:DWORD
	v_cvt_f64_f32_e32 v[26:27], v5
	v_mul_f64 v[26:27], v[26:27], s[6:7]
	v_and_or_b32 v5, v27, s17, v26
	v_cmp_ne_u32_e32 vcc, 0, v5
	v_lshrrev_b32_e32 v9, 8, v27
	v_bfe_u32 v11, v27, 20, 11
	v_cndmask_b32_e64 v5, 0, 1, vcc
	v_and_or_b32 v5, v9, s16, v5
	v_sub_u32_e32 v12, 0x3f1, v11
	v_or_b32_e32 v9, 0x1000, v5
	v_med3_i32 v12, v12, 0, 13
	v_lshrrev_b32_e32 v14, v12, v9
	v_lshlrev_b32_e32 v12, v12, v14
	v_cmp_ne_u32_e32 vcc, v12, v9
	v_add_u32_e32 v11, 0xfffffc10, v11
	v_lshl_or_b32 v12, v11, 12, v5
	v_cndmask_b32_e64 v9, 0, 1, vcc
	v_or_b32_e32 v9, v14, v9
	v_cmp_gt_i32_e32 vcc, 1, v11
	v_bitop3_b32 v3, v7, s18, v3 bitop3:0xc8
	v_lshrrev_b32_e32 v7, 16, v13
	v_cndmask_b32_e32 v9, v12, v9, vcc
	v_and_b32_e32 v12, 7, v9
	v_cmp_lt_i32_e32 vcc, 5, v12
	v_cmp_eq_u32_e64 s[0:1], 3, v12
	v_lshrrev_b32_e32 v9, 2, v9
	s_or_b64 vcc, s[0:1], vcc
	v_addc_co_u32_e32 v9, vcc, 0, v9, vcc
	v_cmp_gt_i32_e32 vcc, 31, v11
	s_nop 1
	v_cndmask_b32_e32 v9, v22, v9, vcc
	v_cmp_ne_u32_e32 vcc, 0, v5
	s_nop 1
	v_cndmask_b32_e64 v5, 0, 1, vcc
	v_lshl_or_b32 v5, v5, 9, v22
	v_cmp_eq_u32_e32 vcc, s14, v11
	s_nop 1
	v_cndmask_b32_e32 v5, v9, v5, vcc
	v_lshrrev_b32_e32 v9, 16, v27
	v_and_or_b32 v5, v9, s15, v5
	v_mul_f16_sdwa v9, v134, v7 dst_sel:DWORD dst_unused:UNUSED_PAD src0_sel:WORD_1 src1_sel:DWORD
	v_fma_f16 v9, v134, v13, v9
	v_cvt_f32_f16_e32 v9, v9
	v_lshl_or_b32 v5, v5, 16, v3
	v_mov_b32_e32 v3, 0x6c0
	v_mad_u64_u32 v[24:25], s[0:1], s4, v3, v[24:25]
	v_cvt_f64_f32_e32 v[26:27], v9
	v_add_u32_e32 v25, s20, v25
	v_mul_f64 v[26:27], v[26:27], s[6:7]
	global_store_dword v[24:25], v5, off
	v_and_or_b32 v5, v27, s17, v26
	v_cmp_ne_u32_e32 vcc, 0, v5
	v_lshrrev_b32_e32 v9, 8, v27
	v_bfe_u32 v11, v27, 20, 11
	v_cndmask_b32_e64 v5, 0, 1, vcc
	v_and_or_b32 v5, v9, s16, v5
	v_sub_u32_e32 v12, 0x3f1, v11
	v_or_b32_e32 v9, 0x1000, v5
	v_med3_i32 v12, v12, 0, 13
	v_lshrrev_b32_e32 v14, v12, v9
	v_lshlrev_b32_e32 v12, v12, v14
	v_cmp_ne_u32_e32 vcc, v12, v9
	v_add_u32_e32 v11, 0xfffffc10, v11
	v_lshl_or_b32 v12, v11, 12, v5
	v_cndmask_b32_e64 v9, 0, 1, vcc
	v_or_b32_e32 v9, v14, v9
	v_cmp_gt_i32_e32 vcc, 1, v11
	s_nop 1
	v_cndmask_b32_e32 v9, v12, v9, vcc
	v_and_b32_e32 v12, 7, v9
	v_cmp_lt_i32_e32 vcc, 5, v12
	v_cmp_eq_u32_e64 s[0:1], 3, v12
	v_mul_f16_sdwa v12, v134, v13 dst_sel:DWORD dst_unused:UNUSED_PAD src0_sel:WORD_1 src1_sel:DWORD
	v_fma_f16 v7, v134, v7, -v12
	v_cvt_f32_f16_e32 v7, v7
	v_lshrrev_b32_e32 v9, 2, v9
	s_or_b64 vcc, s[0:1], vcc
	v_addc_co_u32_e32 v9, vcc, 0, v9, vcc
	v_cmp_gt_i32_e32 vcc, 31, v11
	v_cvt_f64_f32_e32 v[12:13], v7
	v_mul_f64 v[12:13], v[12:13], s[6:7]
	v_cndmask_b32_e32 v9, v22, v9, vcc
	v_cmp_ne_u32_e32 vcc, 0, v5
	v_and_or_b32 v7, v13, s17, v12
	v_bfe_u32 v12, v13, 20, 11
	v_cndmask_b32_e64 v5, 0, 1, vcc
	v_lshl_or_b32 v5, v5, 9, v22
	v_cmp_eq_u32_e32 vcc, s14, v11
	v_lshrrev_b32_e32 v11, 8, v13
	v_sub_u32_e32 v14, 0x3f1, v12
	v_cndmask_b32_e32 v5, v9, v5, vcc
	v_cmp_ne_u32_e32 vcc, 0, v7
	v_med3_i32 v14, v14, 0, 13
	v_add_u32_e32 v12, 0xfffffc10, v12
	v_cndmask_b32_e64 v7, 0, 1, vcc
	v_and_or_b32 v7, v11, s16, v7
	v_or_b32_e32 v11, 0x1000, v7
	v_lshrrev_b32_e32 v16, v14, v11
	v_lshlrev_b32_e32 v14, v14, v16
	v_cmp_ne_u32_e32 vcc, v14, v11
	v_lshl_or_b32 v14, v12, 12, v7
	v_and_b32_sdwa v9, v27, s15 dst_sel:DWORD dst_unused:UNUSED_PAD src0_sel:WORD_1 src1_sel:DWORD
	v_cndmask_b32_e64 v11, 0, 1, vcc
	v_or_b32_e32 v11, v16, v11
	v_cmp_gt_i32_e32 vcc, 1, v12
	v_bitop3_b32 v5, v9, s18, v5 bitop3:0xc8
	s_nop 0
	v_cndmask_b32_e32 v11, v14, v11, vcc
	v_and_b32_e32 v14, 7, v11
	v_cmp_lt_i32_e32 vcc, 5, v14
	v_cmp_eq_u32_e64 s[0:1], 3, v14
	v_lshrrev_b32_e32 v11, 2, v11
	s_or_b64 vcc, s[0:1], vcc
	v_addc_co_u32_e32 v11, vcc, 0, v11, vcc
	v_cmp_gt_i32_e32 vcc, 31, v12
	s_mul_hi_u32 s1, s4, 0xfffff8a4
	s_mul_i32 s0, s5, 0xfffff8a4
	v_cndmask_b32_e32 v11, v22, v11, vcc
	v_cmp_ne_u32_e32 vcc, 0, v7
	s_sub_i32 s1, s1, s4
	s_add_i32 s11, s1, s0
	v_cndmask_b32_e64 v7, 0, 1, vcc
	v_lshl_or_b32 v7, v7, 9, v22
	v_cmp_eq_u32_e32 vcc, s14, v12
	s_lshl_b64 s[12:13], s[10:11], 2
	v_lshl_add_u64 v[24:25], v[24:25], 0, s[12:13]
	v_cndmask_b32_e32 v7, v11, v7, vcc
	v_lshrrev_b32_e32 v11, 16, v13
	ds_read2_b32 v[12:13], v85 offset0:20 offset1:80
	v_and_or_b32 v7, v11, s15, v7
	v_lshl_or_b32 v5, v7, 16, v5
	global_store_dword v[24:25], v5, off
	v_lshl_add_u64 v[24:25], v[24:25], 0, s[8:9]
	s_waitcnt lgkmcnt(0)
	v_lshrrev_b32_e32 v7, 16, v12
	v_mul_f16_sdwa v9, v133, v7 dst_sel:DWORD dst_unused:UNUSED_PAD src0_sel:WORD_1 src1_sel:DWORD
	v_fma_f16 v9, v133, v12, v9
	v_cvt_f32_f16_e32 v9, v9
	v_mul_f16_sdwa v12, v133, v12 dst_sel:DWORD dst_unused:UNUSED_PAD src0_sel:WORD_1 src1_sel:DWORD
	v_fma_f16 v7, v133, v7, -v12
	v_cvt_f32_f16_e32 v7, v7
	v_cvt_f64_f32_e32 v[26:27], v9
	v_mul_f64 v[26:27], v[26:27], s[6:7]
	v_and_or_b32 v5, v27, s17, v26
	v_cmp_ne_u32_e32 vcc, 0, v5
	v_lshrrev_b32_e32 v9, 8, v27
	v_bfe_u32 v11, v27, 20, 11
	v_cndmask_b32_e64 v5, 0, 1, vcc
	v_and_or_b32 v5, v9, s16, v5
	v_sub_u32_e32 v14, 0x3f1, v11
	v_or_b32_e32 v9, 0x1000, v5
	v_med3_i32 v14, v14, 0, 13
	v_lshrrev_b32_e32 v16, v14, v9
	v_lshlrev_b32_e32 v14, v14, v16
	v_cmp_ne_u32_e32 vcc, v14, v9
	v_add_u32_e32 v11, 0xfffffc10, v11
	v_lshl_or_b32 v14, v11, 12, v5
	v_cndmask_b32_e64 v9, 0, 1, vcc
	v_or_b32_e32 v9, v16, v9
	v_cmp_gt_i32_e32 vcc, 1, v11
	s_nop 1
	v_cndmask_b32_e32 v9, v14, v9, vcc
	v_and_b32_e32 v14, 7, v9
	v_cmp_lt_i32_e32 vcc, 5, v14
	v_cmp_eq_u32_e64 s[0:1], 3, v14
	v_lshrrev_b32_e32 v9, 2, v9
	s_or_b64 vcc, s[0:1], vcc
	v_addc_co_u32_e32 v9, vcc, 0, v9, vcc
	v_cmp_gt_i32_e32 vcc, 31, v11
	s_nop 1
	v_cndmask_b32_e32 v9, v22, v9, vcc
	v_cmp_ne_u32_e32 vcc, 0, v5
	s_nop 1
	v_cndmask_b32_e64 v5, 0, 1, vcc
	v_lshl_or_b32 v5, v5, 9, v22
	v_cmp_eq_u32_e32 vcc, s14, v11
	s_nop 1
	v_cndmask_b32_e32 v5, v9, v5, vcc
	v_and_b32_sdwa v9, v27, s15 dst_sel:DWORD dst_unused:UNUSED_PAD src0_sel:WORD_1 src1_sel:DWORD
	v_cvt_f64_f32_e32 v[26:27], v7
	v_mul_f64 v[26:27], v[26:27], s[6:7]
	v_and_or_b32 v7, v27, s17, v26
	v_cmp_ne_u32_e32 vcc, 0, v7
	v_lshrrev_b32_e32 v11, 8, v27
	v_bfe_u32 v12, v27, 20, 11
	v_cndmask_b32_e64 v7, 0, 1, vcc
	v_and_or_b32 v7, v11, s16, v7
	v_sub_u32_e32 v14, 0x3f1, v12
	v_or_b32_e32 v11, 0x1000, v7
	v_med3_i32 v14, v14, 0, 13
	v_lshrrev_b32_e32 v16, v14, v11
	v_lshlrev_b32_e32 v14, v14, v16
	v_cmp_ne_u32_e32 vcc, v14, v11
	v_add_u32_e32 v12, 0xfffffc10, v12
	v_lshl_or_b32 v14, v12, 12, v7
	v_cndmask_b32_e64 v11, 0, 1, vcc
	v_or_b32_e32 v11, v16, v11
	v_cmp_gt_i32_e32 vcc, 1, v12
	v_bitop3_b32 v5, v9, s18, v5 bitop3:0xc8
	v_lshrrev_b32_e32 v9, 16, v15
	v_cndmask_b32_e32 v11, v14, v11, vcc
	v_and_b32_e32 v14, 7, v11
	v_cmp_lt_i32_e32 vcc, 5, v14
	v_cmp_eq_u32_e64 s[0:1], 3, v14
	v_lshrrev_b32_e32 v11, 2, v11
	s_or_b64 vcc, s[0:1], vcc
	v_addc_co_u32_e32 v11, vcc, 0, v11, vcc
	v_cmp_gt_i32_e32 vcc, 31, v12
	s_nop 1
	v_cndmask_b32_e32 v11, v22, v11, vcc
	v_cmp_ne_u32_e32 vcc, 0, v7
	s_nop 1
	v_cndmask_b32_e64 v7, 0, 1, vcc
	v_lshl_or_b32 v7, v7, 9, v22
	v_cmp_eq_u32_e32 vcc, s14, v12
	s_nop 1
	v_cndmask_b32_e32 v7, v11, v7, vcc
	v_lshrrev_b32_e32 v11, 16, v27
	v_and_or_b32 v7, v11, s15, v7
	v_mul_f16_sdwa v11, v131, v9 dst_sel:DWORD dst_unused:UNUSED_PAD src0_sel:WORD_1 src1_sel:DWORD
	v_fma_f16 v11, v131, v15, v11
	v_cvt_f32_f16_e32 v11, v11
	v_lshl_or_b32 v5, v7, 16, v5
	global_store_dword v[24:25], v5, off
	v_lshl_add_u64 v[24:25], v[24:25], 0, s[8:9]
	v_cvt_f64_f32_e32 v[26:27], v11
	v_mul_f64 v[26:27], v[26:27], s[6:7]
	v_and_or_b32 v5, v27, s17, v26
	v_cmp_ne_u32_e32 vcc, 0, v5
	v_lshrrev_b32_e32 v7, 8, v27
	v_bfe_u32 v11, v27, 20, 11
	v_cndmask_b32_e64 v5, 0, 1, vcc
	v_and_or_b32 v5, v7, s16, v5
	v_sub_u32_e32 v12, 0x3f1, v11
	v_or_b32_e32 v7, 0x1000, v5
	v_med3_i32 v12, v12, 0, 13
	v_lshrrev_b32_e32 v14, v12, v7
	v_lshlrev_b32_e32 v12, v12, v14
	v_cmp_ne_u32_e32 vcc, v12, v7
	v_add_u32_e32 v11, 0xfffffc10, v11
	v_lshl_or_b32 v12, v11, 12, v5
	v_cndmask_b32_e64 v7, 0, 1, vcc
	v_or_b32_e32 v7, v14, v7
	v_cmp_gt_i32_e32 vcc, 1, v11
	s_nop 1
	v_cndmask_b32_e32 v7, v12, v7, vcc
	v_and_b32_e32 v12, 7, v7
	v_cmp_lt_i32_e32 vcc, 5, v12
	v_cmp_eq_u32_e64 s[0:1], 3, v12
	v_mul_f16_sdwa v12, v131, v15 dst_sel:DWORD dst_unused:UNUSED_PAD src0_sel:WORD_1 src1_sel:DWORD
	v_lshrrev_b32_e32 v7, 2, v7
	s_or_b64 vcc, s[0:1], vcc
	v_fma_f16 v9, v131, v9, -v12
	v_addc_co_u32_e32 v7, vcc, 0, v7, vcc
	v_cvt_f32_f16_e32 v9, v9
	v_cmp_gt_i32_e32 vcc, 31, v11
	v_cvt_f64_f32_e32 v[14:15], v9
	s_nop 0
	v_cndmask_b32_e32 v7, v22, v7, vcc
	v_cmp_ne_u32_e32 vcc, 0, v5
	s_nop 1
	v_cndmask_b32_e64 v5, 0, 1, vcc
	v_lshl_or_b32 v5, v5, 9, v22
	v_cmp_eq_u32_e32 vcc, s14, v11
	s_nop 1
	v_cndmask_b32_e32 v5, v7, v5, vcc
	v_and_b32_sdwa v7, v27, s15 dst_sel:DWORD dst_unused:UNUSED_PAD src0_sel:WORD_1 src1_sel:DWORD
	v_mul_f64 v[26:27], v[14:15], s[6:7]
	v_and_or_b32 v9, v27, s17, v26
	v_cmp_ne_u32_e32 vcc, 0, v9
	v_lshrrev_b32_e32 v11, 8, v27
	v_bfe_u32 v12, v27, 20, 11
	v_cndmask_b32_e64 v9, 0, 1, vcc
	v_and_or_b32 v9, v11, s16, v9
	v_sub_u32_e32 v14, 0x3f1, v12
	v_or_b32_e32 v11, 0x1000, v9
	v_med3_i32 v14, v14, 0, 13
	v_lshrrev_b32_e32 v15, v14, v11
	v_lshlrev_b32_e32 v14, v14, v15
	v_cmp_ne_u32_e32 vcc, v14, v11
	v_add_u32_e32 v12, 0xfffffc10, v12
	v_lshl_or_b32 v14, v12, 12, v9
	v_cndmask_b32_e64 v11, 0, 1, vcc
	v_or_b32_e32 v11, v15, v11
	v_cmp_gt_i32_e32 vcc, 1, v12
	v_bitop3_b32 v5, v7, s18, v5 bitop3:0xc8
	s_nop 0
	v_cndmask_b32_e32 v11, v14, v11, vcc
	v_and_b32_e32 v14, 7, v11
	v_cmp_lt_i32_e32 vcc, 5, v14
	v_cmp_eq_u32_e64 s[0:1], 3, v14
	v_lshrrev_b32_e32 v11, 2, v11
	s_or_b64 vcc, s[0:1], vcc
	v_addc_co_u32_e32 v11, vcc, 0, v11, vcc
	ds_read2_b32 v[14:15], v84 offset0:68 offset1:128
	v_cmp_gt_i32_e32 vcc, 31, v12
	s_waitcnt lgkmcnt(0)
	v_lshrrev_b32_e32 v7, 16, v14
	v_cndmask_b32_e32 v11, v22, v11, vcc
	v_cmp_ne_u32_e32 vcc, 0, v9
	s_nop 1
	v_cndmask_b32_e64 v9, 0, 1, vcc
	v_lshl_or_b32 v9, v9, 9, v22
	v_cmp_eq_u32_e32 vcc, s14, v12
	s_nop 1
	v_cndmask_b32_e32 v9, v11, v9, vcc
	v_lshrrev_b32_e32 v11, 16, v27
	v_and_or_b32 v9, v11, s15, v9
	v_mul_f16_sdwa v11, v132, v7 dst_sel:DWORD dst_unused:UNUSED_PAD src0_sel:WORD_1 src1_sel:DWORD
	v_fma_f16 v11, v132, v14, v11
	v_cvt_f32_f16_e32 v11, v11
	v_lshl_or_b32 v5, v9, 16, v5
	global_store_dword v[24:25], v5, off
	v_lshl_add_u64 v[24:25], v[24:25], 0, s[8:9]
	v_cvt_f64_f32_e32 v[26:27], v11
	v_mul_f64 v[26:27], v[26:27], s[6:7]
	v_and_or_b32 v5, v27, s17, v26
	v_cmp_ne_u32_e32 vcc, 0, v5
	v_lshrrev_b32_e32 v9, 8, v27
	v_bfe_u32 v11, v27, 20, 11
	v_cndmask_b32_e64 v5, 0, 1, vcc
	v_and_or_b32 v5, v9, s16, v5
	v_sub_u32_e32 v12, 0x3f1, v11
	v_or_b32_e32 v9, 0x1000, v5
	v_med3_i32 v12, v12, 0, 13
	v_lshrrev_b32_e32 v16, v12, v9
	v_lshlrev_b32_e32 v12, v12, v16
	v_cmp_ne_u32_e32 vcc, v12, v9
	v_add_u32_e32 v11, 0xfffffc10, v11
	v_lshl_or_b32 v12, v11, 12, v5
	v_cndmask_b32_e64 v9, 0, 1, vcc
	v_or_b32_e32 v9, v16, v9
	v_cmp_gt_i32_e32 vcc, 1, v11
	s_nop 1
	v_cndmask_b32_e32 v9, v12, v9, vcc
	v_and_b32_e32 v12, 7, v9
	v_cmp_lt_i32_e32 vcc, 5, v12
	v_cmp_eq_u32_e64 s[0:1], 3, v12
	v_lshrrev_b32_e32 v9, 2, v9
	s_or_b64 vcc, s[0:1], vcc
	v_mul_f16_sdwa v12, v132, v14 dst_sel:DWORD dst_unused:UNUSED_PAD src0_sel:WORD_1 src1_sel:DWORD
	v_addc_co_u32_e32 v9, vcc, 0, v9, vcc
	v_fma_f16 v7, v132, v7, -v12
	v_cmp_gt_i32_e32 vcc, 31, v11
	v_cvt_f32_f16_e32 v7, v7
	s_nop 0
	v_cndmask_b32_e32 v9, v22, v9, vcc
	v_cmp_ne_u32_e32 vcc, 0, v5
	s_nop 1
	v_cndmask_b32_e64 v5, 0, 1, vcc
	v_lshl_or_b32 v5, v5, 9, v22
	v_cmp_eq_u32_e32 vcc, s14, v11
	s_nop 1
	v_cndmask_b32_e32 v5, v9, v5, vcc
	v_and_b32_sdwa v9, v27, s15 dst_sel:DWORD dst_unused:UNUSED_PAD src0_sel:WORD_1 src1_sel:DWORD
	v_cvt_f64_f32_e32 v[26:27], v7
	v_mul_f64 v[26:27], v[26:27], s[6:7]
	v_and_or_b32 v7, v27, s17, v26
	v_cmp_ne_u32_e32 vcc, 0, v7
	v_lshrrev_b32_e32 v11, 8, v27
	v_bfe_u32 v12, v27, 20, 11
	v_cndmask_b32_e64 v7, 0, 1, vcc
	v_and_or_b32 v7, v11, s16, v7
	v_sub_u32_e32 v14, 0x3f1, v12
	v_or_b32_e32 v11, 0x1000, v7
	v_med3_i32 v14, v14, 0, 13
	v_lshrrev_b32_e32 v16, v14, v11
	v_lshlrev_b32_e32 v14, v14, v16
	v_cmp_ne_u32_e32 vcc, v14, v11
	v_add_u32_e32 v12, 0xfffffc10, v12
	v_lshl_or_b32 v14, v12, 12, v7
	v_cndmask_b32_e64 v11, 0, 1, vcc
	v_or_b32_e32 v11, v16, v11
	v_cmp_gt_i32_e32 vcc, 1, v12
	v_bitop3_b32 v5, v9, s18, v5 bitop3:0xc8
	v_lshrrev_b32_e32 v9, 16, v17
	v_cndmask_b32_e32 v11, v14, v11, vcc
	v_and_b32_e32 v14, 7, v11
	v_cmp_lt_i32_e32 vcc, 5, v14
	v_cmp_eq_u32_e64 s[0:1], 3, v14
	v_lshrrev_b32_e32 v11, 2, v11
	s_or_b64 vcc, s[0:1], vcc
	v_addc_co_u32_e32 v11, vcc, 0, v11, vcc
	v_cmp_gt_i32_e32 vcc, 31, v12
	s_nop 1
	v_cndmask_b32_e32 v11, v22, v11, vcc
	v_cmp_ne_u32_e32 vcc, 0, v7
	s_nop 1
	v_cndmask_b32_e64 v7, 0, 1, vcc
	v_lshl_or_b32 v7, v7, 9, v22
	v_cmp_eq_u32_e32 vcc, s14, v12
	s_nop 1
	v_cndmask_b32_e32 v7, v11, v7, vcc
	v_lshrrev_b32_e32 v11, 16, v27
	v_and_or_b32 v7, v11, s15, v7
	v_mul_f16_sdwa v11, v130, v9 dst_sel:DWORD dst_unused:UNUSED_PAD src0_sel:WORD_1 src1_sel:DWORD
	v_fma_f16 v11, v130, v17, v11
	v_cvt_f32_f16_e32 v11, v11
	v_lshl_or_b32 v5, v7, 16, v5
	global_store_dword v[24:25], v5, off
	v_lshl_add_u64 v[24:25], v[24:25], 0, s[8:9]
	v_cvt_f64_f32_e32 v[26:27], v11
	v_mul_f64 v[26:27], v[26:27], s[6:7]
	v_and_or_b32 v5, v27, s17, v26
	v_cmp_ne_u32_e32 vcc, 0, v5
	v_lshrrev_b32_e32 v7, 8, v27
	v_bfe_u32 v11, v27, 20, 11
	v_cndmask_b32_e64 v5, 0, 1, vcc
	v_and_or_b32 v5, v7, s16, v5
	v_sub_u32_e32 v12, 0x3f1, v11
	v_or_b32_e32 v7, 0x1000, v5
	v_med3_i32 v12, v12, 0, 13
	v_lshrrev_b32_e32 v14, v12, v7
	v_lshlrev_b32_e32 v12, v12, v14
	v_cmp_ne_u32_e32 vcc, v12, v7
	v_add_u32_e32 v11, 0xfffffc10, v11
	v_lshl_or_b32 v12, v11, 12, v5
	v_cndmask_b32_e64 v7, 0, 1, vcc
	v_or_b32_e32 v7, v14, v7
	v_cmp_gt_i32_e32 vcc, 1, v11
	s_nop 1
	v_cndmask_b32_e32 v7, v12, v7, vcc
	v_and_b32_e32 v12, 7, v7
	v_cmp_lt_i32_e32 vcc, 5, v12
	v_cmp_eq_u32_e64 s[0:1], 3, v12
	v_mul_f16_sdwa v12, v130, v17 dst_sel:DWORD dst_unused:UNUSED_PAD src0_sel:WORD_1 src1_sel:DWORD
	v_lshrrev_b32_e32 v7, 2, v7
	s_or_b64 vcc, s[0:1], vcc
	v_fma_f16 v9, v130, v9, -v12
	v_addc_co_u32_e32 v7, vcc, 0, v7, vcc
	v_cvt_f32_f16_e32 v9, v9
	v_cmp_gt_i32_e32 vcc, 31, v11
	v_cvt_f64_f32_e32 v[16:17], v9
	s_nop 0
	v_cndmask_b32_e32 v7, v22, v7, vcc
	v_cmp_ne_u32_e32 vcc, 0, v5
	s_nop 1
	v_cndmask_b32_e64 v5, 0, 1, vcc
	v_lshl_or_b32 v5, v5, 9, v22
	v_cmp_eq_u32_e32 vcc, s14, v11
	s_nop 1
	v_cndmask_b32_e32 v5, v7, v5, vcc
	v_and_b32_sdwa v7, v27, s15 dst_sel:DWORD dst_unused:UNUSED_PAD src0_sel:WORD_1 src1_sel:DWORD
	v_mul_f64 v[26:27], v[16:17], s[6:7]
	v_and_or_b32 v9, v27, s17, v26
	v_cmp_ne_u32_e32 vcc, 0, v9
	v_lshrrev_b32_e32 v11, 8, v27
	v_bfe_u32 v12, v27, 20, 11
	v_cndmask_b32_e64 v9, 0, 1, vcc
	v_and_or_b32 v9, v11, s16, v9
	v_sub_u32_e32 v14, 0x3f1, v12
	v_or_b32_e32 v11, 0x1000, v9
	v_med3_i32 v14, v14, 0, 13
	v_lshrrev_b32_e32 v16, v14, v11
	v_lshlrev_b32_e32 v14, v14, v16
	v_cmp_ne_u32_e32 vcc, v14, v11
	v_add_u32_e32 v12, 0xfffffc10, v12
	v_lshl_or_b32 v14, v12, 12, v9
	v_cndmask_b32_e64 v11, 0, 1, vcc
	v_or_b32_e32 v11, v16, v11
	v_cmp_gt_i32_e32 vcc, 1, v12
	ds_read2_b32 v[16:17], v73 offset0:116 offset1:176
	v_bitop3_b32 v5, v7, s18, v5 bitop3:0xc8
	v_cndmask_b32_e32 v11, v14, v11, vcc
	v_and_b32_e32 v14, 7, v11
	v_cmp_lt_i32_e32 vcc, 5, v14
	v_cmp_eq_u32_e64 s[0:1], 3, v14
	v_lshrrev_b32_e32 v11, 2, v11
	s_or_b64 vcc, s[0:1], vcc
	v_addc_co_u32_e32 v11, vcc, 0, v11, vcc
	v_cmp_gt_i32_e32 vcc, 31, v12
	s_waitcnt lgkmcnt(0)
	v_lshrrev_b32_e32 v7, 16, v16
	v_cndmask_b32_e32 v11, v22, v11, vcc
	v_cmp_ne_u32_e32 vcc, 0, v9
	s_nop 1
	v_cndmask_b32_e64 v9, 0, 1, vcc
	v_lshl_or_b32 v9, v9, 9, v22
	v_cmp_eq_u32_e32 vcc, s14, v12
	s_nop 1
	v_cndmask_b32_e32 v9, v11, v9, vcc
	v_lshrrev_b32_e32 v11, 16, v27
	v_and_or_b32 v9, v11, s15, v9
	v_mul_f16_sdwa v11, v129, v7 dst_sel:DWORD dst_unused:UNUSED_PAD src0_sel:WORD_1 src1_sel:DWORD
	v_fma_f16 v11, v129, v16, v11
	v_cvt_f32_f16_e32 v11, v11
	v_lshl_or_b32 v5, v9, 16, v5
	global_store_dword v[24:25], v5, off
	v_lshl_add_u64 v[24:25], v[24:25], 0, s[8:9]
	v_cvt_f64_f32_e32 v[26:27], v11
	v_mul_f64 v[26:27], v[26:27], s[6:7]
	v_and_or_b32 v5, v27, s17, v26
	v_cmp_ne_u32_e32 vcc, 0, v5
	v_lshrrev_b32_e32 v9, 8, v27
	v_bfe_u32 v11, v27, 20, 11
	v_cndmask_b32_e64 v5, 0, 1, vcc
	v_and_or_b32 v5, v9, s16, v5
	v_sub_u32_e32 v12, 0x3f1, v11
	v_or_b32_e32 v9, 0x1000, v5
	v_med3_i32 v12, v12, 0, 13
	v_lshrrev_b32_e32 v14, v12, v9
	v_lshlrev_b32_e32 v12, v12, v14
	v_cmp_ne_u32_e32 vcc, v12, v9
	v_add_u32_e32 v11, 0xfffffc10, v11
	v_lshl_or_b32 v12, v11, 12, v5
	v_cndmask_b32_e64 v9, 0, 1, vcc
	v_or_b32_e32 v9, v14, v9
	v_cmp_gt_i32_e32 vcc, 1, v11
	s_nop 1
	v_cndmask_b32_e32 v9, v12, v9, vcc
	v_and_b32_e32 v12, 7, v9
	v_cmp_lt_i32_e32 vcc, 5, v12
	v_cmp_eq_u32_e64 s[0:1], 3, v12
	v_lshrrev_b32_e32 v9, 2, v9
	s_or_b64 vcc, s[0:1], vcc
	v_mul_f16_sdwa v12, v129, v16 dst_sel:DWORD dst_unused:UNUSED_PAD src0_sel:WORD_1 src1_sel:DWORD
	v_addc_co_u32_e32 v9, vcc, 0, v9, vcc
	v_fma_f16 v7, v129, v7, -v12
	v_cmp_gt_i32_e32 vcc, 31, v11
	v_cvt_f32_f16_e32 v7, v7
	s_nop 0
	v_cndmask_b32_e32 v9, v22, v9, vcc
	v_cmp_ne_u32_e32 vcc, 0, v5
	s_nop 1
	v_cndmask_b32_e64 v5, 0, 1, vcc
	v_lshl_or_b32 v5, v5, 9, v22
	v_cmp_eq_u32_e32 vcc, s14, v11
	s_nop 1
	v_cndmask_b32_e32 v5, v9, v5, vcc
	v_and_b32_sdwa v9, v27, s15 dst_sel:DWORD dst_unused:UNUSED_PAD src0_sel:WORD_1 src1_sel:DWORD
	v_cvt_f64_f32_e32 v[26:27], v7
	v_mul_f64 v[26:27], v[26:27], s[6:7]
	v_and_or_b32 v7, v27, s17, v26
	v_cmp_ne_u32_e32 vcc, 0, v7
	v_lshrrev_b32_e32 v11, 8, v27
	v_bfe_u32 v12, v27, 20, 11
	v_cndmask_b32_e64 v7, 0, 1, vcc
	v_and_or_b32 v7, v11, s16, v7
	v_sub_u32_e32 v14, 0x3f1, v12
	v_or_b32_e32 v11, 0x1000, v7
	v_med3_i32 v14, v14, 0, 13
	v_lshrrev_b32_e32 v16, v14, v11
	v_lshlrev_b32_e32 v14, v14, v16
	v_cmp_ne_u32_e32 vcc, v14, v11
	v_add_u32_e32 v12, 0xfffffc10, v12
	v_lshl_or_b32 v14, v12, 12, v7
	v_cndmask_b32_e64 v11, 0, 1, vcc
	v_or_b32_e32 v11, v16, v11
	v_cmp_gt_i32_e32 vcc, 1, v12
	v_bitop3_b32 v5, v9, s18, v5 bitop3:0xc8
	v_lshrrev_b32_e32 v9, 16, v19
	v_cndmask_b32_e32 v11, v14, v11, vcc
	v_and_b32_e32 v14, 7, v11
	v_cmp_lt_i32_e32 vcc, 5, v14
	v_cmp_eq_u32_e64 s[0:1], 3, v14
	v_lshrrev_b32_e32 v11, 2, v11
	s_or_b64 vcc, s[0:1], vcc
	v_addc_co_u32_e32 v11, vcc, 0, v11, vcc
	v_cmp_gt_i32_e32 vcc, 31, v12
	s_nop 1
	v_cndmask_b32_e32 v11, v22, v11, vcc
	v_cmp_ne_u32_e32 vcc, 0, v7
	s_nop 1
	v_cndmask_b32_e64 v7, 0, 1, vcc
	v_lshl_or_b32 v7, v7, 9, v22
	v_cmp_eq_u32_e32 vcc, s14, v12
	s_nop 1
	v_cndmask_b32_e32 v7, v11, v7, vcc
	v_lshrrev_b32_e32 v11, 16, v27
	v_and_or_b32 v7, v11, s15, v7
	v_mul_f16_sdwa v11, v128, v9 dst_sel:DWORD dst_unused:UNUSED_PAD src0_sel:WORD_1 src1_sel:DWORD
	v_fma_f16 v11, v128, v19, v11
	v_cvt_f32_f16_e32 v11, v11
	v_lshl_or_b32 v5, v7, 16, v5
	global_store_dword v[24:25], v5, off
	v_lshl_add_u64 v[24:25], v[24:25], 0, s[8:9]
	v_cvt_f64_f32_e32 v[26:27], v11
	v_mul_f64 v[26:27], v[26:27], s[6:7]
	v_and_or_b32 v5, v27, s17, v26
	v_cmp_ne_u32_e32 vcc, 0, v5
	v_lshrrev_b32_e32 v7, 8, v27
	v_bfe_u32 v11, v27, 20, 11
	v_cndmask_b32_e64 v5, 0, 1, vcc
	v_and_or_b32 v5, v7, s16, v5
	v_sub_u32_e32 v12, 0x3f1, v11
	v_or_b32_e32 v7, 0x1000, v5
	v_med3_i32 v12, v12, 0, 13
	v_lshrrev_b32_e32 v14, v12, v7
	v_lshlrev_b32_e32 v12, v12, v14
	v_cmp_ne_u32_e32 vcc, v12, v7
	v_add_u32_e32 v11, 0xfffffc10, v11
	v_lshl_or_b32 v12, v11, 12, v5
	v_cndmask_b32_e64 v7, 0, 1, vcc
	v_or_b32_e32 v7, v14, v7
	v_cmp_gt_i32_e32 vcc, 1, v11
	s_nop 1
	v_cndmask_b32_e32 v7, v12, v7, vcc
	v_and_b32_e32 v12, 7, v7
	v_cmp_lt_i32_e32 vcc, 5, v12
	v_cmp_eq_u32_e64 s[0:1], 3, v12
	v_mul_f16_sdwa v12, v128, v19 dst_sel:DWORD dst_unused:UNUSED_PAD src0_sel:WORD_1 src1_sel:DWORD
	v_lshrrev_b32_e32 v7, 2, v7
	s_or_b64 vcc, s[0:1], vcc
	v_fma_f16 v9, v128, v9, -v12
	v_addc_co_u32_e32 v7, vcc, 0, v7, vcc
	v_cvt_f32_f16_e32 v9, v9
	v_cmp_gt_i32_e32 vcc, 31, v11
	v_cvt_f64_f32_e32 v[18:19], v9
	s_nop 0
	v_cndmask_b32_e32 v7, v22, v7, vcc
	v_cmp_ne_u32_e32 vcc, 0, v5
	s_nop 1
	v_cndmask_b32_e64 v5, 0, 1, vcc
	v_lshl_or_b32 v5, v5, 9, v22
	v_cmp_eq_u32_e32 vcc, s14, v11
	s_nop 1
	v_cndmask_b32_e32 v5, v7, v5, vcc
	v_and_b32_sdwa v7, v27, s15 dst_sel:DWORD dst_unused:UNUSED_PAD src0_sel:WORD_1 src1_sel:DWORD
	v_mul_f64 v[26:27], v[18:19], s[6:7]
	v_and_or_b32 v9, v27, s17, v26
	v_cmp_ne_u32_e32 vcc, 0, v9
	v_lshrrev_b32_e32 v11, 8, v27
	v_bfe_u32 v12, v27, 20, 11
	v_cndmask_b32_e64 v9, 0, 1, vcc
	v_and_or_b32 v9, v11, s16, v9
	v_sub_u32_e32 v14, 0x3f1, v12
	v_or_b32_e32 v11, 0x1000, v9
	v_med3_i32 v14, v14, 0, 13
	v_lshrrev_b32_e32 v16, v14, v11
	v_lshlrev_b32_e32 v14, v14, v16
	v_cmp_ne_u32_e32 vcc, v14, v11
	v_add_u32_e32 v12, 0xfffffc10, v12
	v_lshl_or_b32 v14, v12, 12, v9
	v_cndmask_b32_e64 v11, 0, 1, vcc
	v_or_b32_e32 v11, v16, v11
	v_cmp_gt_i32_e32 vcc, 1, v12
	ds_read2_b32 v[18:19], v83 offset0:36 offset1:96
	v_bitop3_b32 v5, v7, s18, v5 bitop3:0xc8
	v_cndmask_b32_e32 v11, v14, v11, vcc
	v_and_b32_e32 v14, 7, v11
	v_cmp_lt_i32_e32 vcc, 5, v14
	v_cmp_eq_u32_e64 s[0:1], 3, v14
	v_lshrrev_b32_e32 v11, 2, v11
	s_or_b64 vcc, s[0:1], vcc
	v_addc_co_u32_e32 v11, vcc, 0, v11, vcc
	v_cmp_gt_i32_e32 vcc, 31, v12
	s_waitcnt lgkmcnt(0)
	v_lshrrev_b32_e32 v7, 16, v18
	v_cndmask_b32_e32 v11, v22, v11, vcc
	v_cmp_ne_u32_e32 vcc, 0, v9
	s_nop 1
	v_cndmask_b32_e64 v9, 0, 1, vcc
	v_lshl_or_b32 v9, v9, 9, v22
	v_cmp_eq_u32_e32 vcc, s14, v12
	s_nop 1
	v_cndmask_b32_e32 v9, v11, v9, vcc
	v_lshrrev_b32_e32 v11, 16, v27
	v_and_or_b32 v9, v11, s15, v9
	v_mul_f16_sdwa v11, v126, v7 dst_sel:DWORD dst_unused:UNUSED_PAD src0_sel:WORD_1 src1_sel:DWORD
	v_fma_f16 v11, v126, v18, v11
	v_cvt_f32_f16_e32 v11, v11
	v_lshl_or_b32 v5, v9, 16, v5
	global_store_dword v[24:25], v5, off
	v_lshl_add_u64 v[24:25], v[24:25], 0, s[8:9]
	v_cvt_f64_f32_e32 v[26:27], v11
	v_mul_f64 v[26:27], v[26:27], s[6:7]
	v_and_or_b32 v5, v27, s17, v26
	v_cmp_ne_u32_e32 vcc, 0, v5
	v_lshrrev_b32_e32 v9, 8, v27
	v_bfe_u32 v11, v27, 20, 11
	v_cndmask_b32_e64 v5, 0, 1, vcc
	v_and_or_b32 v5, v9, s16, v5
	v_sub_u32_e32 v12, 0x3f1, v11
	v_or_b32_e32 v9, 0x1000, v5
	v_med3_i32 v12, v12, 0, 13
	v_lshrrev_b32_e32 v14, v12, v9
	v_lshlrev_b32_e32 v12, v12, v14
	v_cmp_ne_u32_e32 vcc, v12, v9
	v_add_u32_e32 v11, 0xfffffc10, v11
	v_lshl_or_b32 v12, v11, 12, v5
	v_cndmask_b32_e64 v9, 0, 1, vcc
	v_or_b32_e32 v9, v14, v9
	v_cmp_gt_i32_e32 vcc, 1, v11
	s_nop 1
	v_cndmask_b32_e32 v9, v12, v9, vcc
	v_and_b32_e32 v12, 7, v9
	v_cmp_lt_i32_e32 vcc, 5, v12
	v_cmp_eq_u32_e64 s[0:1], 3, v12
	v_lshrrev_b32_e32 v9, 2, v9
	s_or_b64 vcc, s[0:1], vcc
	v_mul_f16_sdwa v12, v126, v18 dst_sel:DWORD dst_unused:UNUSED_PAD src0_sel:WORD_1 src1_sel:DWORD
	v_addc_co_u32_e32 v9, vcc, 0, v9, vcc
	v_fma_f16 v7, v126, v7, -v12
	v_cmp_gt_i32_e32 vcc, 31, v11
	v_cvt_f32_f16_e32 v7, v7
	s_nop 0
	v_cndmask_b32_e32 v9, v22, v9, vcc
	v_cmp_ne_u32_e32 vcc, 0, v5
	s_nop 1
	v_cndmask_b32_e64 v5, 0, 1, vcc
	v_lshl_or_b32 v5, v5, 9, v22
	v_cmp_eq_u32_e32 vcc, s14, v11
	s_nop 1
	v_cndmask_b32_e32 v5, v9, v5, vcc
	v_and_b32_sdwa v9, v27, s15 dst_sel:DWORD dst_unused:UNUSED_PAD src0_sel:WORD_1 src1_sel:DWORD
	v_cvt_f64_f32_e32 v[26:27], v7
	v_mul_f64 v[26:27], v[26:27], s[6:7]
	v_and_or_b32 v7, v27, s17, v26
	v_cmp_ne_u32_e32 vcc, 0, v7
	v_lshrrev_b32_e32 v11, 8, v27
	v_bfe_u32 v12, v27, 20, 11
	v_cndmask_b32_e64 v7, 0, 1, vcc
	v_and_or_b32 v7, v11, s16, v7
	v_sub_u32_e32 v14, 0x3f1, v12
	v_or_b32_e32 v11, 0x1000, v7
	v_med3_i32 v14, v14, 0, 13
	v_lshrrev_b32_e32 v16, v14, v11
	v_lshlrev_b32_e32 v14, v14, v16
	v_cmp_ne_u32_e32 vcc, v14, v11
	v_add_u32_e32 v12, 0xfffffc10, v12
	v_lshl_or_b32 v14, v12, 12, v7
	v_cndmask_b32_e64 v11, 0, 1, vcc
	v_or_b32_e32 v11, v16, v11
	v_cmp_gt_i32_e32 vcc, 1, v12
	v_bitop3_b32 v5, v9, s18, v5 bitop3:0xc8
	v_lshrrev_b32_e32 v9, 16, v21
	v_cndmask_b32_e32 v11, v14, v11, vcc
	v_and_b32_e32 v14, 7, v11
	v_cmp_lt_i32_e32 vcc, 5, v14
	v_cmp_eq_u32_e64 s[0:1], 3, v14
	v_lshrrev_b32_e32 v11, 2, v11
	s_or_b64 vcc, s[0:1], vcc
	v_addc_co_u32_e32 v11, vcc, 0, v11, vcc
	v_cmp_gt_i32_e32 vcc, 31, v12
	s_nop 1
	v_cndmask_b32_e32 v11, v22, v11, vcc
	v_cmp_ne_u32_e32 vcc, 0, v7
	s_nop 1
	v_cndmask_b32_e64 v7, 0, 1, vcc
	v_lshl_or_b32 v7, v7, 9, v22
	v_cmp_eq_u32_e32 vcc, s14, v12
	s_nop 1
	v_cndmask_b32_e32 v7, v11, v7, vcc
	v_lshrrev_b32_e32 v11, 16, v27
	v_and_or_b32 v7, v11, s15, v7
	v_mul_f16_sdwa v11, v127, v9 dst_sel:DWORD dst_unused:UNUSED_PAD src0_sel:WORD_1 src1_sel:DWORD
	v_fma_f16 v11, v127, v21, v11
	v_cvt_f32_f16_e32 v11, v11
	v_lshl_or_b32 v5, v7, 16, v5
	global_store_dword v[24:25], v5, off
	v_lshl_add_u64 v[24:25], v[24:25], 0, s[8:9]
	v_cvt_f64_f32_e32 v[26:27], v11
	v_mul_f64 v[26:27], v[26:27], s[6:7]
	v_and_or_b32 v5, v27, s17, v26
	v_cmp_ne_u32_e32 vcc, 0, v5
	v_lshrrev_b32_e32 v7, 8, v27
	v_bfe_u32 v11, v27, 20, 11
	v_cndmask_b32_e64 v5, 0, 1, vcc
	v_and_or_b32 v5, v7, s16, v5
	v_sub_u32_e32 v12, 0x3f1, v11
	v_or_b32_e32 v7, 0x1000, v5
	v_med3_i32 v12, v12, 0, 13
	v_lshrrev_b32_e32 v14, v12, v7
	v_lshlrev_b32_e32 v12, v12, v14
	v_cmp_ne_u32_e32 vcc, v12, v7
	v_add_u32_e32 v11, 0xfffffc10, v11
	v_lshl_or_b32 v12, v11, 12, v5
	v_cndmask_b32_e64 v7, 0, 1, vcc
	v_or_b32_e32 v7, v14, v7
	v_cmp_gt_i32_e32 vcc, 1, v11
	s_nop 1
	v_cndmask_b32_e32 v7, v12, v7, vcc
	v_and_b32_e32 v12, 7, v7
	v_cmp_lt_i32_e32 vcc, 5, v12
	v_cmp_eq_u32_e64 s[0:1], 3, v12
	v_mul_f16_sdwa v12, v127, v21 dst_sel:DWORD dst_unused:UNUSED_PAD src0_sel:WORD_1 src1_sel:DWORD
	v_lshrrev_b32_e32 v7, 2, v7
	s_or_b64 vcc, s[0:1], vcc
	v_fma_f16 v9, v127, v9, -v12
	v_addc_co_u32_e32 v7, vcc, 0, v7, vcc
	v_cvt_f32_f16_e32 v9, v9
	v_cmp_gt_i32_e32 vcc, 31, v11
	v_cvt_f64_f32_e32 v[20:21], v9
	s_nop 0
	v_cndmask_b32_e32 v7, v22, v7, vcc
	v_cmp_ne_u32_e32 vcc, 0, v5
	s_nop 1
	v_cndmask_b32_e64 v5, 0, 1, vcc
	v_lshl_or_b32 v5, v5, 9, v22
	v_cmp_eq_u32_e32 vcc, s14, v11
	s_nop 1
	v_cndmask_b32_e32 v5, v7, v5, vcc
	v_and_b32_sdwa v7, v27, s15 dst_sel:DWORD dst_unused:UNUSED_PAD src0_sel:WORD_1 src1_sel:DWORD
	v_mul_f64 v[26:27], v[20:21], s[6:7]
	v_and_or_b32 v9, v27, s17, v26
	v_cmp_ne_u32_e32 vcc, 0, v9
	v_lshrrev_b32_e32 v11, 8, v27
	v_bfe_u32 v12, v27, 20, 11
	v_cndmask_b32_e64 v9, 0, 1, vcc
	v_and_or_b32 v9, v11, s16, v9
	v_sub_u32_e32 v14, 0x3f1, v12
	v_or_b32_e32 v11, 0x1000, v9
	v_med3_i32 v14, v14, 0, 13
	v_lshrrev_b32_e32 v16, v14, v11
	v_lshlrev_b32_e32 v14, v14, v16
	v_cmp_ne_u32_e32 vcc, v14, v11
	v_add_u32_e32 v12, 0xfffffc10, v12
	v_lshl_or_b32 v14, v12, 12, v9
	v_cndmask_b32_e64 v11, 0, 1, vcc
	v_or_b32_e32 v11, v16, v11
	v_cmp_gt_i32_e32 vcc, 1, v12
	ds_read2_b32 v[20:21], v82 offset0:84 offset1:144
	v_bitop3_b32 v5, v7, s18, v5 bitop3:0xc8
	v_cndmask_b32_e32 v11, v14, v11, vcc
	v_and_b32_e32 v14, 7, v11
	v_cmp_lt_i32_e32 vcc, 5, v14
	v_cmp_eq_u32_e64 s[0:1], 3, v14
	v_lshrrev_b32_e32 v11, 2, v11
	s_or_b64 vcc, s[0:1], vcc
	v_addc_co_u32_e32 v11, vcc, 0, v11, vcc
	v_cmp_gt_i32_e32 vcc, 31, v12
	s_waitcnt lgkmcnt(0)
	v_lshrrev_b32_e32 v7, 16, v20
	v_cndmask_b32_e32 v11, v22, v11, vcc
	v_cmp_ne_u32_e32 vcc, 0, v9
	s_nop 1
	v_cndmask_b32_e64 v9, 0, 1, vcc
	v_lshl_or_b32 v9, v9, 9, v22
	v_cmp_eq_u32_e32 vcc, s14, v12
	s_nop 1
	v_cndmask_b32_e32 v9, v11, v9, vcc
	v_lshrrev_b32_e32 v11, 16, v27
	v_and_or_b32 v9, v11, s15, v9
	v_mul_f16_sdwa v11, v125, v7 dst_sel:DWORD dst_unused:UNUSED_PAD src0_sel:WORD_1 src1_sel:DWORD
	v_fma_f16 v11, v125, v20, v11
	v_cvt_f32_f16_e32 v11, v11
	v_lshl_or_b32 v5, v9, 16, v5
	global_store_dword v[24:25], v5, off
	v_lshl_add_u64 v[24:25], v[24:25], 0, s[8:9]
	v_cvt_f64_f32_e32 v[26:27], v11
	v_mul_f64 v[26:27], v[26:27], s[6:7]
	v_and_or_b32 v5, v27, s17, v26
	v_cmp_ne_u32_e32 vcc, 0, v5
	v_lshrrev_b32_e32 v9, 8, v27
	v_bfe_u32 v11, v27, 20, 11
	v_cndmask_b32_e64 v5, 0, 1, vcc
	v_and_or_b32 v5, v9, s16, v5
	v_sub_u32_e32 v12, 0x3f1, v11
	v_or_b32_e32 v9, 0x1000, v5
	v_med3_i32 v12, v12, 0, 13
	v_lshrrev_b32_e32 v14, v12, v9
	v_lshlrev_b32_e32 v12, v12, v14
	v_cmp_ne_u32_e32 vcc, v12, v9
	v_add_u32_e32 v11, 0xfffffc10, v11
	v_lshl_or_b32 v12, v11, 12, v5
	v_cndmask_b32_e64 v9, 0, 1, vcc
	v_or_b32_e32 v9, v14, v9
	v_cmp_gt_i32_e32 vcc, 1, v11
	s_nop 1
	v_cndmask_b32_e32 v9, v12, v9, vcc
	v_and_b32_e32 v12, 7, v9
	v_cmp_lt_i32_e32 vcc, 5, v12
	v_cmp_eq_u32_e64 s[0:1], 3, v12
	v_lshrrev_b32_e32 v9, 2, v9
	s_or_b64 vcc, s[0:1], vcc
	v_mul_f16_sdwa v12, v125, v20 dst_sel:DWORD dst_unused:UNUSED_PAD src0_sel:WORD_1 src1_sel:DWORD
	v_addc_co_u32_e32 v9, vcc, 0, v9, vcc
	v_fma_f16 v7, v125, v7, -v12
	v_cmp_gt_i32_e32 vcc, 31, v11
	v_cvt_f32_f16_e32 v7, v7
	s_nop 0
	v_cndmask_b32_e32 v9, v22, v9, vcc
	v_cmp_ne_u32_e32 vcc, 0, v5
	s_nop 1
	v_cndmask_b32_e64 v5, 0, 1, vcc
	v_lshl_or_b32 v5, v5, 9, v22
	v_cmp_eq_u32_e32 vcc, s14, v11
	s_nop 1
	v_cndmask_b32_e32 v5, v9, v5, vcc
	v_and_b32_sdwa v9, v27, s15 dst_sel:DWORD dst_unused:UNUSED_PAD src0_sel:WORD_1 src1_sel:DWORD
	v_cvt_f64_f32_e32 v[26:27], v7
	v_mul_f64 v[26:27], v[26:27], s[6:7]
	v_and_or_b32 v7, v27, s17, v26
	v_cmp_ne_u32_e32 vcc, 0, v7
	v_lshrrev_b32_e32 v11, 8, v27
	v_bfe_u32 v12, v27, 20, 11
	v_cndmask_b32_e64 v7, 0, 1, vcc
	v_and_or_b32 v7, v11, s16, v7
	v_sub_u32_e32 v14, 0x3f1, v12
	v_or_b32_e32 v11, 0x1000, v7
	v_med3_i32 v14, v14, 0, 13
	v_lshrrev_b32_e32 v16, v14, v11
	v_lshlrev_b32_e32 v14, v14, v16
	v_cmp_ne_u32_e32 vcc, v14, v11
	v_add_u32_e32 v12, 0xfffffc10, v12
	v_lshl_or_b32 v14, v12, 12, v7
	v_cndmask_b32_e64 v11, 0, 1, vcc
	v_or_b32_e32 v11, v16, v11
	v_cmp_gt_i32_e32 vcc, 1, v12
	v_bitop3_b32 v5, v9, s18, v5 bitop3:0xc8
	v_lshrrev_b32_e32 v9, 16, v2
	v_cndmask_b32_e32 v11, v14, v11, vcc
	v_and_b32_e32 v14, 7, v11
	v_cmp_lt_i32_e32 vcc, 5, v14
	v_cmp_eq_u32_e64 s[0:1], 3, v14
	v_lshrrev_b32_e32 v11, 2, v11
	s_or_b64 vcc, s[0:1], vcc
	v_addc_co_u32_e32 v11, vcc, 0, v11, vcc
	v_cmp_gt_i32_e32 vcc, 31, v12
	s_nop 1
	v_cndmask_b32_e32 v11, v22, v11, vcc
	v_cmp_ne_u32_e32 vcc, 0, v7
	s_nop 1
	v_cndmask_b32_e64 v7, 0, 1, vcc
	v_lshl_or_b32 v7, v7, 9, v22
	v_cmp_eq_u32_e32 vcc, s14, v12
	s_nop 1
	v_cndmask_b32_e32 v7, v11, v7, vcc
	v_lshrrev_b32_e32 v11, 16, v27
	v_and_or_b32 v7, v11, s15, v7
	v_mul_f16_sdwa v11, v124, v9 dst_sel:DWORD dst_unused:UNUSED_PAD src0_sel:WORD_1 src1_sel:DWORD
	v_fma_f16 v11, v124, v2, v11
	v_cvt_f32_f16_e32 v11, v11
	v_lshl_or_b32 v5, v7, 16, v5
	global_store_dword v[24:25], v5, off
	v_mul_f16_sdwa v2, v124, v2 dst_sel:DWORD dst_unused:UNUSED_PAD src0_sel:WORD_1 src1_sel:DWORD
	v_cvt_f64_f32_e32 v[26:27], v11
	v_mul_f64 v[26:27], v[26:27], s[6:7]
	v_and_or_b32 v5, v27, s17, v26
	v_cmp_ne_u32_e32 vcc, 0, v5
	v_lshrrev_b32_e32 v7, 8, v27
	v_bfe_u32 v11, v27, 20, 11
	v_cndmask_b32_e64 v5, 0, 1, vcc
	v_and_or_b32 v5, v7, s16, v5
	v_sub_u32_e32 v12, 0x3f1, v11
	v_or_b32_e32 v7, 0x1000, v5
	v_med3_i32 v12, v12, 0, 13
	v_lshrrev_b32_e32 v14, v12, v7
	v_lshlrev_b32_e32 v12, v12, v14
	v_cmp_ne_u32_e32 vcc, v12, v7
	v_add_u32_e32 v11, 0xfffffc10, v11
	v_lshl_or_b32 v12, v11, 12, v5
	v_cndmask_b32_e64 v7, 0, 1, vcc
	v_or_b32_e32 v7, v14, v7
	v_cmp_gt_i32_e32 vcc, 1, v11
	v_fma_f16 v2, v124, v9, -v2
	v_cvt_f32_f16_e32 v2, v2
	v_cndmask_b32_e32 v7, v12, v7, vcc
	v_and_b32_e32 v12, 7, v7
	v_cmp_lt_i32_e32 vcc, 5, v12
	v_cmp_eq_u32_e64 s[0:1], 3, v12
	v_lshrrev_b32_e32 v7, 2, v7
	s_or_b64 vcc, s[0:1], vcc
	v_addc_co_u32_e32 v7, vcc, 0, v7, vcc
	v_cmp_gt_i32_e32 vcc, 31, v11
	v_lshl_add_u64 v[24:25], v[24:25], 0, s[12:13]
	s_nop 0
	v_cndmask_b32_e32 v7, v22, v7, vcc
	v_cmp_ne_u32_e32 vcc, 0, v5
	s_nop 1
	v_cndmask_b32_e64 v5, 0, 1, vcc
	v_lshl_or_b32 v5, v5, 9, v22
	v_cmp_eq_u32_e32 vcc, s14, v11
	s_nop 1
	v_cndmask_b32_e32 v5, v7, v5, vcc
	v_and_b32_sdwa v7, v27, s15 dst_sel:DWORD dst_unused:UNUSED_PAD src0_sel:WORD_1 src1_sel:DWORD
	v_cvt_f64_f32_e32 v[26:27], v2
	v_mul_f64 v[26:27], v[26:27], s[6:7]
	v_and_or_b32 v2, v27, s17, v26
	v_cmp_ne_u32_e32 vcc, 0, v2
	v_lshrrev_b32_e32 v9, 8, v27
	v_bfe_u32 v11, v27, 20, 11
	v_cndmask_b32_e64 v2, 0, 1, vcc
	v_and_or_b32 v2, v9, s16, v2
	v_sub_u32_e32 v12, 0x3f1, v11
	v_or_b32_e32 v9, 0x1000, v2
	v_med3_i32 v12, v12, 0, 13
	v_lshrrev_b32_e32 v14, v12, v9
	v_lshlrev_b32_e32 v12, v12, v14
	v_cmp_ne_u32_e32 vcc, v12, v9
	v_add_u32_e32 v11, 0xfffffc10, v11
	v_lshl_or_b32 v12, v11, 12, v2
	v_cndmask_b32_e64 v9, 0, 1, vcc
	v_or_b32_e32 v9, v14, v9
	v_cmp_gt_i32_e32 vcc, 1, v11
	v_bitop3_b32 v5, v7, s18, v5 bitop3:0xc8
	v_lshrrev_b32_e32 v7, 16, v13
	v_cndmask_b32_e32 v9, v12, v9, vcc
	v_and_b32_e32 v12, 7, v9
	v_cmp_lt_i32_e32 vcc, 5, v12
	v_cmp_eq_u32_e64 s[0:1], 3, v12
	v_lshrrev_b32_e32 v9, 2, v9
	s_or_b64 vcc, s[0:1], vcc
	v_addc_co_u32_e32 v9, vcc, 0, v9, vcc
	v_cmp_gt_i32_e32 vcc, 31, v11
	s_nop 1
	v_cndmask_b32_e32 v9, v22, v9, vcc
	v_cmp_ne_u32_e32 vcc, 0, v2
	s_nop 1
	v_cndmask_b32_e64 v2, 0, 1, vcc
	v_lshl_or_b32 v2, v2, 9, v22
	v_cmp_eq_u32_e32 vcc, s14, v11
	s_nop 1
	v_cndmask_b32_e32 v2, v9, v2, vcc
	v_lshrrev_b32_e32 v9, 16, v27
	v_and_or_b32 v2, v9, s15, v2
	v_mul_f16_sdwa v9, v121, v7 dst_sel:DWORD dst_unused:UNUSED_PAD src0_sel:WORD_1 src1_sel:DWORD
	v_fma_f16 v9, v121, v13, v9
	v_cvt_f32_f16_e32 v9, v9
	v_lshl_or_b32 v2, v2, 16, v5
	global_store_dword v[24:25], v2, off
	v_cvt_f64_f32_e32 v[26:27], v9
	v_mul_f64 v[26:27], v[26:27], s[6:7]
	v_and_or_b32 v2, v27, s17, v26
	v_cmp_ne_u32_e32 vcc, 0, v2
	v_lshrrev_b32_e32 v5, 8, v27
	v_bfe_u32 v9, v27, 20, 11
	v_cndmask_b32_e64 v2, 0, 1, vcc
	v_and_or_b32 v2, v5, s16, v2
	v_sub_u32_e32 v11, 0x3f1, v9
	v_or_b32_e32 v5, 0x1000, v2
	v_med3_i32 v11, v11, 0, 13
	v_lshrrev_b32_e32 v12, v11, v5
	v_lshlrev_b32_e32 v11, v11, v12
	v_cmp_ne_u32_e32 vcc, v11, v5
	v_add_u32_e32 v9, 0xfffffc10, v9
	v_lshl_or_b32 v11, v9, 12, v2
	v_cndmask_b32_e64 v5, 0, 1, vcc
	v_or_b32_e32 v5, v12, v5
	v_cmp_gt_i32_e32 vcc, 1, v9
	s_nop 1
	v_cndmask_b32_e32 v5, v11, v5, vcc
	v_and_b32_e32 v11, 7, v5
	v_cmp_lt_i32_e32 vcc, 5, v11
	v_cmp_eq_u32_e64 s[0:1], 3, v11
	v_mul_f16_sdwa v11, v121, v13 dst_sel:DWORD dst_unused:UNUSED_PAD src0_sel:WORD_1 src1_sel:DWORD
	v_fma_f16 v7, v121, v7, -v11
	v_cvt_f32_f16_e32 v7, v7
	v_lshrrev_b32_e32 v5, 2, v5
	s_or_b64 vcc, s[0:1], vcc
	v_addc_co_u32_e32 v5, vcc, 0, v5, vcc
	v_cmp_gt_i32_e32 vcc, 31, v9
	v_cvt_f64_f32_e32 v[12:13], v7
	v_mul_f64 v[12:13], v[12:13], s[6:7]
	v_cndmask_b32_e32 v5, v22, v5, vcc
	v_cmp_ne_u32_e32 vcc, 0, v2
	v_and_or_b32 v7, v13, s17, v12
	v_bfe_u32 v11, v13, 20, 11
	v_cndmask_b32_e64 v2, 0, 1, vcc
	v_lshl_or_b32 v2, v2, 9, v22
	v_cmp_eq_u32_e32 vcc, s14, v9
	v_lshrrev_b32_e32 v9, 8, v13
	v_sub_u32_e32 v12, 0x3f1, v11
	v_cndmask_b32_e32 v2, v5, v2, vcc
	v_cmp_ne_u32_e32 vcc, 0, v7
	v_med3_i32 v12, v12, 0, 13
	v_add_u32_e32 v11, 0xfffffc10, v11
	v_cndmask_b32_e64 v7, 0, 1, vcc
	v_and_or_b32 v7, v9, s16, v7
	v_or_b32_e32 v9, 0x1000, v7
	v_lshrrev_b32_e32 v14, v12, v9
	v_lshlrev_b32_e32 v12, v12, v14
	v_cmp_ne_u32_e32 vcc, v12, v9
	v_lshl_or_b32 v12, v11, 12, v7
	v_and_b32_sdwa v5, v27, s15 dst_sel:DWORD dst_unused:UNUSED_PAD src0_sel:WORD_1 src1_sel:DWORD
	v_cndmask_b32_e64 v9, 0, 1, vcc
	v_or_b32_e32 v9, v14, v9
	v_cmp_gt_i32_e32 vcc, 1, v11
	v_bitop3_b32 v2, v5, s18, v2 bitop3:0xc8
	v_lshrrev_b32_e32 v5, 16, v4
	v_cndmask_b32_e32 v9, v12, v9, vcc
	v_and_b32_e32 v12, 7, v9
	v_cmp_lt_i32_e32 vcc, 5, v12
	v_cmp_eq_u32_e64 s[0:1], 3, v12
	v_lshrrev_b32_e32 v9, 2, v9
	s_or_b64 vcc, s[0:1], vcc
	v_addc_co_u32_e32 v9, vcc, 0, v9, vcc
	v_cmp_gt_i32_e32 vcc, 31, v11
	s_nop 1
	v_cndmask_b32_e32 v9, v22, v9, vcc
	v_cmp_ne_u32_e32 vcc, 0, v7
	s_nop 1
	v_cndmask_b32_e64 v7, 0, 1, vcc
	v_lshl_or_b32 v7, v7, 9, v22
	v_cmp_eq_u32_e32 vcc, s14, v11
	s_nop 1
	v_cndmask_b32_e32 v7, v9, v7, vcc
	v_lshrrev_b32_e32 v9, 16, v13
	v_and_or_b32 v7, v9, s15, v7
	v_mul_f16_sdwa v9, v122, v5 dst_sel:DWORD dst_unused:UNUSED_PAD src0_sel:WORD_1 src1_sel:DWORD
	v_fma_f16 v9, v122, v4, v9
	v_cvt_f32_f16_e32 v9, v9
	v_lshl_add_u64 v[12:13], v[24:25], 0, s[8:9]
	v_lshl_or_b32 v2, v7, 16, v2
	global_store_dword v[12:13], v2, off
	v_cvt_f64_f32_e32 v[24:25], v9
	v_mul_f64 v[24:25], v[24:25], s[6:7]
	v_and_or_b32 v2, v25, s17, v24
	v_cmp_ne_u32_e32 vcc, 0, v2
	v_lshrrev_b32_e32 v7, 8, v25
	v_bfe_u32 v9, v25, 20, 11
	v_cndmask_b32_e64 v2, 0, 1, vcc
	v_and_or_b32 v2, v7, s16, v2
	v_sub_u32_e32 v11, 0x3f1, v9
	v_or_b32_e32 v7, 0x1000, v2
	v_med3_i32 v11, v11, 0, 13
	v_lshrrev_b32_e32 v14, v11, v7
	v_lshlrev_b32_e32 v11, v11, v14
	v_cmp_ne_u32_e32 vcc, v11, v7
	v_add_u32_e32 v9, 0xfffffc10, v9
	v_lshl_or_b32 v11, v9, 12, v2
	v_cndmask_b32_e64 v7, 0, 1, vcc
	v_or_b32_e32 v7, v14, v7
	v_cmp_gt_i32_e32 vcc, 1, v9
	v_mul_f16_sdwa v4, v122, v4 dst_sel:DWORD dst_unused:UNUSED_PAD src0_sel:WORD_1 src1_sel:DWORD
	v_fma_f16 v4, v122, v5, -v4
	v_cndmask_b32_e32 v7, v11, v7, vcc
	v_and_b32_e32 v11, 7, v7
	v_cmp_lt_i32_e32 vcc, 5, v11
	v_cmp_eq_u32_e64 s[0:1], 3, v11
	v_cvt_f32_f16_e32 v4, v4
	v_lshrrev_b32_e32 v7, 2, v7
	s_or_b64 vcc, s[0:1], vcc
	v_addc_co_u32_e32 v7, vcc, 0, v7, vcc
	v_cmp_gt_i32_e32 vcc, 31, v9
	v_cvt_f64_f32_e32 v[4:5], v4
	v_mul_f64 v[4:5], v[4:5], s[6:7]
	v_cndmask_b32_e32 v7, v22, v7, vcc
	v_cmp_ne_u32_e32 vcc, 0, v2
	v_and_or_b32 v4, v5, s17, v4
	v_bfe_u32 v11, v5, 20, 11
	v_cndmask_b32_e64 v2, 0, 1, vcc
	v_lshl_or_b32 v2, v2, 9, v22
	v_cmp_eq_u32_e32 vcc, s14, v9
	v_lshrrev_b32_e32 v9, 8, v5
	v_sub_u32_e32 v14, 0x3f1, v11
	v_cndmask_b32_e32 v2, v7, v2, vcc
	v_cmp_ne_u32_e32 vcc, 0, v4
	v_med3_i32 v14, v14, 0, 13
	v_add_u32_e32 v11, 0xfffffc10, v11
	v_cndmask_b32_e64 v4, 0, 1, vcc
	v_and_or_b32 v4, v9, s16, v4
	v_or_b32_e32 v9, 0x1000, v4
	v_lshrrev_b32_e32 v16, v14, v9
	v_lshlrev_b32_e32 v14, v14, v16
	v_cmp_ne_u32_e32 vcc, v14, v9
	v_lshl_or_b32 v14, v11, 12, v4
	v_and_b32_sdwa v7, v25, s15 dst_sel:DWORD dst_unused:UNUSED_PAD src0_sel:WORD_1 src1_sel:DWORD
	v_cndmask_b32_e64 v9, 0, 1, vcc
	v_or_b32_e32 v9, v16, v9
	v_cmp_gt_i32_e32 vcc, 1, v11
	v_lshrrev_b32_e32 v5, 16, v5
	v_bitop3_b32 v2, v7, s18, v2 bitop3:0xc8
	v_cndmask_b32_e32 v9, v14, v9, vcc
	v_and_b32_e32 v14, 7, v9
	v_cmp_lt_i32_e32 vcc, 5, v14
	v_cmp_eq_u32_e64 s[0:1], 3, v14
	v_lshrrev_b32_e32 v9, 2, v9
	s_or_b64 vcc, s[0:1], vcc
	v_addc_co_u32_e32 v9, vcc, 0, v9, vcc
	v_cmp_gt_i32_e32 vcc, 31, v11
	v_lshrrev_b32_e32 v7, 16, v15
	s_nop 0
	v_cndmask_b32_e32 v9, v22, v9, vcc
	v_cmp_ne_u32_e32 vcc, 0, v4
	s_nop 1
	v_cndmask_b32_e64 v4, 0, 1, vcc
	v_lshl_or_b32 v4, v4, 9, v22
	v_cmp_eq_u32_e32 vcc, s14, v11
	s_nop 1
	v_cndmask_b32_e32 v4, v9, v4, vcc
	v_and_or_b32 v4, v5, s15, v4
	v_mul_f16_sdwa v5, v120, v7 dst_sel:DWORD dst_unused:UNUSED_PAD src0_sel:WORD_1 src1_sel:DWORD
	v_fma_f16 v5, v120, v15, v5
	v_cvt_f32_f16_e32 v9, v5
	v_lshl_or_b32 v2, v4, 16, v2
	v_lshl_add_u64 v[4:5], v[12:13], 0, s[8:9]
	global_store_dword v[4:5], v2, off
	v_cvt_f64_f32_e32 v[12:13], v9
	v_mul_f64 v[12:13], v[12:13], s[6:7]
	v_and_or_b32 v2, v13, s17, v12
	v_cmp_ne_u32_e32 vcc, 0, v2
	v_lshrrev_b32_e32 v9, 8, v13
	v_bfe_u32 v11, v13, 20, 11
	v_cndmask_b32_e64 v2, 0, 1, vcc
	v_and_or_b32 v2, v9, s16, v2
	v_sub_u32_e32 v12, 0x3f1, v11
	v_or_b32_e32 v9, 0x1000, v2
	v_med3_i32 v12, v12, 0, 13
	v_lshrrev_b32_e32 v14, v12, v9
	v_lshlrev_b32_e32 v12, v12, v14
	v_cmp_ne_u32_e32 vcc, v12, v9
	v_add_u32_e32 v11, 0xfffffc10, v11
	v_lshl_or_b32 v12, v11, 12, v2
	v_cndmask_b32_e64 v9, 0, 1, vcc
	v_or_b32_e32 v9, v14, v9
	v_cmp_gt_i32_e32 vcc, 1, v11
	s_nop 1
	v_cndmask_b32_e32 v9, v12, v9, vcc
	v_and_b32_e32 v12, 7, v9
	v_cmp_lt_i32_e32 vcc, 5, v12
	v_cmp_eq_u32_e64 s[0:1], 3, v12
	v_mul_f16_sdwa v12, v120, v15 dst_sel:DWORD dst_unused:UNUSED_PAD src0_sel:WORD_1 src1_sel:DWORD
	v_fma_f16 v7, v120, v7, -v12
	v_lshrrev_b32_e32 v9, 2, v9
	s_or_b64 vcc, s[0:1], vcc
	v_cvt_f32_f16_e32 v7, v7
	v_addc_co_u32_e32 v9, vcc, 0, v9, vcc
	v_cmp_gt_i32_e32 vcc, 31, v11
	s_nop 1
	v_cndmask_b32_e32 v9, v22, v9, vcc
	v_cmp_ne_u32_e32 vcc, 0, v2
	s_nop 1
	v_cndmask_b32_e64 v2, 0, 1, vcc
	v_cmp_eq_u32_e32 vcc, s14, v11
	v_and_b32_sdwa v11, v13, s15 dst_sel:DWORD dst_unused:UNUSED_PAD src0_sel:WORD_1 src1_sel:DWORD
	v_cvt_f64_f32_e32 v[12:13], v7
	v_lshl_or_b32 v2, v2, 9, v22
	v_mul_f64 v[12:13], v[12:13], s[6:7]
	v_cndmask_b32_e32 v9, v9, v2, vcc
	v_and_or_b32 v2, v13, s17, v12
	v_cmp_ne_u32_e32 vcc, 0, v2
	v_lshrrev_b32_e32 v7, 8, v13
	v_bfe_u32 v12, v13, 20, 11
	v_cndmask_b32_e64 v2, 0, 1, vcc
	v_and_or_b32 v2, v7, s16, v2
	v_sub_u32_e32 v14, 0x3f1, v12
	v_or_b32_e32 v7, 0x1000, v2
	v_med3_i32 v14, v14, 0, 13
	v_lshrrev_b32_e32 v15, v14, v7
	v_lshlrev_b32_e32 v14, v14, v15
	v_cmp_ne_u32_e32 vcc, v14, v7
	v_add_u32_e32 v12, 0xfffffc10, v12
	v_lshl_or_b32 v14, v12, 12, v2
	v_cndmask_b32_e64 v7, 0, 1, vcc
	v_or_b32_e32 v7, v15, v7
	v_cmp_gt_i32_e32 vcc, 1, v12
	s_nop 1
	v_cndmask_b32_e32 v7, v14, v7, vcc
	v_and_b32_e32 v14, 7, v7
	v_cmp_lt_i32_e32 vcc, 5, v14
	v_cmp_eq_u32_e64 s[0:1], 3, v14
	v_lshrrev_b32_e32 v7, 2, v7
	s_or_b64 vcc, s[0:1], vcc
	v_addc_co_u32_e32 v7, vcc, 0, v7, vcc
	v_cmp_gt_i32_e32 vcc, 31, v12
	s_nop 1
	v_cndmask_b32_e32 v7, v22, v7, vcc
	v_cmp_ne_u32_e32 vcc, 0, v2
	s_nop 1
	v_cndmask_b32_e64 v2, 0, 1, vcc
	v_lshl_or_b32 v2, v2, 9, v22
	v_cmp_eq_u32_e32 vcc, s14, v12
	s_nop 1
	v_cndmask_b32_e32 v2, v7, v2, vcc
	v_lshrrev_b32_e32 v7, 16, v13
	v_mad_u64_u32 v[12:13], s[0:1], s4, v123, 0
	v_and_or_b32 v7, v7, s15, v2
	v_mov_b32_e32 v2, v13
	v_mad_u64_u32 v[14:15], s[0:1], s5, v123, v[2:3]
	v_bitop3_b32 v2, v11, s18, v9 bitop3:0xc8
	v_lshrrev_b32_e32 v9, 16, v6
	v_mul_f16_sdwa v11, v119, v9 dst_sel:DWORD dst_unused:UNUSED_PAD src0_sel:WORD_1 src1_sel:DWORD
	v_fma_f16 v11, v119, v6, v11
	v_cvt_f32_f16_e32 v11, v11
	v_mov_b32_e32 v13, v14
	v_lshl_or_b32 v2, v7, 16, v2
	v_lshl_add_u64 v[0:1], v[12:13], 2, v[0:1]
	global_store_dword v[0:1], v2, off
	v_cvt_f64_f32_e32 v[0:1], v11
	v_mul_f64 v[0:1], v[0:1], s[6:7]
	v_and_or_b32 v0, v1, s17, v0
	v_cmp_ne_u32_e32 vcc, 0, v0
	v_lshrrev_b32_e32 v2, 8, v1
	v_bfe_u32 v7, v1, 20, 11
	v_cndmask_b32_e64 v0, 0, 1, vcc
	v_and_or_b32 v0, v2, s16, v0
	v_sub_u32_e32 v11, 0x3f1, v7
	v_or_b32_e32 v2, 0x1000, v0
	v_med3_i32 v11, v11, 0, 13
	v_lshrrev_b32_e32 v12, v11, v2
	v_lshlrev_b32_e32 v11, v11, v12
	v_cmp_ne_u32_e32 vcc, v11, v2
	v_add_u32_e32 v7, 0xfffffc10, v7
	v_lshl_or_b32 v11, v7, 12, v0
	v_cndmask_b32_e64 v2, 0, 1, vcc
	v_or_b32_e32 v2, v12, v2
	v_cmp_gt_i32_e32 vcc, 1, v7
	v_mul_f16_sdwa v6, v119, v6 dst_sel:DWORD dst_unused:UNUSED_PAD src0_sel:WORD_1 src1_sel:DWORD
	v_fma_f16 v6, v119, v9, -v6
	v_cndmask_b32_e32 v2, v11, v2, vcc
	v_and_b32_e32 v11, 7, v2
	v_cmp_lt_i32_e32 vcc, 5, v11
	v_cmp_eq_u32_e64 s[0:1], 3, v11
	v_lshrrev_b32_e32 v2, 2, v2
	s_or_b64 vcc, s[0:1], vcc
	v_addc_co_u32_e32 v2, vcc, 0, v2, vcc
	v_cmp_gt_i32_e32 vcc, 31, v7
	v_cvt_f32_f16_e32 v6, v6
	s_nop 0
	v_cndmask_b32_e32 v2, v22, v2, vcc
	v_cmp_ne_u32_e32 vcc, 0, v0
	s_nop 1
	v_cndmask_b32_e64 v0, 0, 1, vcc
	v_lshl_or_b32 v0, v0, 9, v22
	v_cmp_eq_u32_e32 vcc, s14, v7
	v_and_b32_sdwa v7, v1, s15 dst_sel:DWORD dst_unused:UNUSED_PAD src0_sel:WORD_1 src1_sel:DWORD
	s_nop 0
	v_cndmask_b32_e32 v2, v2, v0, vcc
	v_cvt_f64_f32_e32 v[0:1], v6
	v_mul_f64 v[0:1], v[0:1], s[6:7]
	v_and_or_b32 v0, v1, s17, v0
	v_cmp_ne_u32_e32 vcc, 0, v0
	v_lshrrev_b32_e32 v6, 8, v1
	v_bfe_u32 v9, v1, 20, 11
	v_cndmask_b32_e64 v0, 0, 1, vcc
	v_and_or_b32 v0, v6, s16, v0
	v_sub_u32_e32 v11, 0x3f1, v9
	v_or_b32_e32 v6, 0x1000, v0
	v_med3_i32 v11, v11, 0, 13
	v_lshrrev_b32_e32 v12, v11, v6
	v_lshlrev_b32_e32 v11, v11, v12
	v_cmp_ne_u32_e32 vcc, v11, v6
	v_add_u32_e32 v9, 0xfffffc10, v9
	v_lshl_or_b32 v11, v9, 12, v0
	v_cndmask_b32_e64 v6, 0, 1, vcc
	v_or_b32_e32 v6, v12, v6
	v_cmp_gt_i32_e32 vcc, 1, v9
	v_lshrrev_b32_e32 v1, 16, v1
	s_nop 0
	v_cndmask_b32_e32 v6, v11, v6, vcc
	v_and_b32_e32 v11, 7, v6
	v_cmp_lt_i32_e32 vcc, 5, v11
	v_cmp_eq_u32_e64 s[0:1], 3, v11
	v_lshrrev_b32_e32 v6, 2, v6
	s_or_b64 vcc, s[0:1], vcc
	v_addc_co_u32_e32 v6, vcc, 0, v6, vcc
	v_cmp_gt_i32_e32 vcc, 31, v9
	s_nop 1
	v_cndmask_b32_e32 v6, v22, v6, vcc
	v_cmp_ne_u32_e32 vcc, 0, v0
	s_nop 1
	v_cndmask_b32_e64 v0, 0, 1, vcc
	v_lshl_or_b32 v0, v0, 9, v22
	v_cmp_eq_u32_e32 vcc, s14, v9
	s_nop 1
	v_cndmask_b32_e32 v0, v6, v0, vcc
	v_and_or_b32 v0, v1, s15, v0
	v_bitop3_b32 v1, v7, s18, v2 bitop3:0xc8
	v_lshrrev_b32_e32 v6, 16, v17
	v_lshl_or_b32 v2, v0, 16, v1
	v_mul_f16_sdwa v0, v118, v6 dst_sel:DWORD dst_unused:UNUSED_PAD src0_sel:WORD_1 src1_sel:DWORD
	v_fma_f16 v0, v118, v17, v0
	v_cvt_f32_f16_e32 v7, v0
	v_mad_u64_u32 v[0:1], s[0:1], s4, v3, v[4:5]
	v_add_u32_e32 v1, s20, v1
	global_store_dword v[0:1], v2, off
	v_cvt_f64_f32_e32 v[2:3], v7
	v_mul_f64 v[2:3], v[2:3], s[6:7]
	v_and_or_b32 v2, v3, s17, v2
	v_cmp_ne_u32_e32 vcc, 0, v2
	v_lshrrev_b32_e32 v4, 8, v3
	v_bfe_u32 v5, v3, 20, 11
	v_cndmask_b32_e64 v2, 0, 1, vcc
	v_and_or_b32 v2, v4, s16, v2
	v_sub_u32_e32 v7, 0x3f1, v5
	v_or_b32_e32 v4, 0x1000, v2
	v_med3_i32 v7, v7, 0, 13
	v_lshrrev_b32_e32 v9, v7, v4
	v_lshlrev_b32_e32 v7, v7, v9
	v_cmp_ne_u32_e32 vcc, v7, v4
	v_add_u32_e32 v5, 0xfffffc10, v5
	v_lshl_or_b32 v7, v5, 12, v2
	v_cndmask_b32_e64 v4, 0, 1, vcc
	v_or_b32_e32 v4, v9, v4
	v_cmp_gt_i32_e32 vcc, 1, v5
	v_lshl_add_u64 v[0:1], v[0:1], 0, s[8:9]
	s_nop 0
	v_cndmask_b32_e32 v4, v7, v4, vcc
	v_and_b32_e32 v7, 7, v4
	v_cmp_lt_i32_e32 vcc, 5, v7
	v_cmp_eq_u32_e64 s[0:1], 3, v7
	v_lshrrev_b32_e32 v4, 2, v4
	s_or_b64 vcc, s[0:1], vcc
	v_mul_f16_sdwa v7, v118, v17 dst_sel:DWORD dst_unused:UNUSED_PAD src0_sel:WORD_1 src1_sel:DWORD
	v_addc_co_u32_e32 v4, vcc, 0, v4, vcc
	v_fma_f16 v6, v118, v6, -v7
	v_cmp_gt_i32_e32 vcc, 31, v5
	v_cvt_f32_f16_e32 v6, v6
	s_nop 0
	v_cndmask_b32_e32 v4, v22, v4, vcc
	v_cmp_ne_u32_e32 vcc, 0, v2
	s_nop 1
	v_cndmask_b32_e64 v2, 0, 1, vcc
	v_lshl_or_b32 v2, v2, 9, v22
	v_cmp_eq_u32_e32 vcc, s14, v5
	v_and_b32_sdwa v5, v3, s15 dst_sel:DWORD dst_unused:UNUSED_PAD src0_sel:WORD_1 src1_sel:DWORD
	s_nop 0
	v_cndmask_b32_e32 v4, v4, v2, vcc
	v_cvt_f64_f32_e32 v[2:3], v6
	v_mul_f64 v[2:3], v[2:3], s[6:7]
	v_and_or_b32 v2, v3, s17, v2
	v_cmp_ne_u32_e32 vcc, 0, v2
	v_lshrrev_b32_e32 v6, 8, v3
	v_bfe_u32 v7, v3, 20, 11
	v_cndmask_b32_e64 v2, 0, 1, vcc
	v_and_or_b32 v2, v6, s16, v2
	v_sub_u32_e32 v9, 0x3f1, v7
	v_or_b32_e32 v6, 0x1000, v2
	v_med3_i32 v9, v9, 0, 13
	v_lshrrev_b32_e32 v11, v9, v6
	v_lshlrev_b32_e32 v9, v9, v11
	v_cmp_ne_u32_e32 vcc, v9, v6
	v_add_u32_e32 v7, 0xfffffc10, v7
	v_lshl_or_b32 v9, v7, 12, v2
	v_cndmask_b32_e64 v6, 0, 1, vcc
	v_or_b32_e32 v6, v11, v6
	v_cmp_gt_i32_e32 vcc, 1, v7
	v_lshrrev_b32_e32 v3, 16, v3
	s_nop 0
	v_cndmask_b32_e32 v6, v9, v6, vcc
	v_and_b32_e32 v9, 7, v6
	v_cmp_lt_i32_e32 vcc, 5, v9
	v_cmp_eq_u32_e64 s[0:1], 3, v9
	v_lshrrev_b32_e32 v6, 2, v6
	s_or_b64 vcc, s[0:1], vcc
	v_addc_co_u32_e32 v6, vcc, 0, v6, vcc
	v_cmp_gt_i32_e32 vcc, 31, v7
	s_nop 1
	v_cndmask_b32_e32 v6, v22, v6, vcc
	v_cmp_ne_u32_e32 vcc, 0, v2
	s_nop 1
	v_cndmask_b32_e64 v2, 0, 1, vcc
	v_lshl_or_b32 v2, v2, 9, v22
	v_cmp_eq_u32_e32 vcc, s14, v7
	s_nop 1
	v_cndmask_b32_e32 v2, v6, v2, vcc
	v_and_or_b32 v2, v3, s15, v2
	v_bitop3_b32 v3, v5, s18, v4 bitop3:0xc8
	v_lshrrev_b32_e32 v4, 16, v8
	v_mul_f16_sdwa v5, v116, v4 dst_sel:DWORD dst_unused:UNUSED_PAD src0_sel:WORD_1 src1_sel:DWORD
	v_fma_f16 v5, v116, v8, v5
	v_cvt_f32_f16_e32 v5, v5
	v_lshl_or_b32 v2, v2, 16, v3
	global_store_dword v[0:1], v2, off
	v_lshl_add_u64 v[0:1], v[0:1], 0, s[8:9]
	v_cvt_f64_f32_e32 v[2:3], v5
	v_mul_f64 v[2:3], v[2:3], s[6:7]
	v_and_or_b32 v2, v3, s17, v2
	v_cmp_ne_u32_e32 vcc, 0, v2
	v_lshrrev_b32_e32 v5, 8, v3
	v_bfe_u32 v6, v3, 20, 11
	v_cndmask_b32_e64 v2, 0, 1, vcc
	v_and_or_b32 v2, v5, s16, v2
	v_sub_u32_e32 v7, 0x3f1, v6
	v_or_b32_e32 v5, 0x1000, v2
	v_med3_i32 v7, v7, 0, 13
	v_lshrrev_b32_e32 v9, v7, v5
	v_lshlrev_b32_e32 v7, v7, v9
	v_cmp_ne_u32_e32 vcc, v7, v5
	v_add_u32_e32 v6, 0xfffffc10, v6
	v_lshl_or_b32 v7, v6, 12, v2
	v_cndmask_b32_e64 v5, 0, 1, vcc
	v_or_b32_e32 v5, v9, v5
	v_cmp_gt_i32_e32 vcc, 1, v6
	s_nop 1
	v_cndmask_b32_e32 v5, v7, v5, vcc
	v_and_b32_e32 v7, 7, v5
	v_cmp_lt_i32_e32 vcc, 5, v7
	v_cmp_eq_u32_e64 s[0:1], 3, v7
	v_lshrrev_b32_e32 v5, 2, v5
	s_or_b64 vcc, s[0:1], vcc
	v_mul_f16_sdwa v7, v116, v8 dst_sel:DWORD dst_unused:UNUSED_PAD src0_sel:WORD_1 src1_sel:DWORD
	v_addc_co_u32_e32 v5, vcc, 0, v5, vcc
	v_fma_f16 v4, v116, v4, -v7
	v_cmp_gt_i32_e32 vcc, 31, v6
	v_cvt_f32_f16_e32 v4, v4
	s_nop 0
	v_cndmask_b32_e32 v5, v22, v5, vcc
	v_cmp_ne_u32_e32 vcc, 0, v2
	s_nop 1
	v_cndmask_b32_e64 v2, 0, 1, vcc
	v_lshl_or_b32 v2, v2, 9, v22
	v_cmp_eq_u32_e32 vcc, s14, v6
	v_and_b32_sdwa v6, v3, s15 dst_sel:DWORD dst_unused:UNUSED_PAD src0_sel:WORD_1 src1_sel:DWORD
	s_nop 0
	v_cndmask_b32_e32 v5, v5, v2, vcc
	v_cvt_f64_f32_e32 v[2:3], v4
	v_mul_f64 v[2:3], v[2:3], s[6:7]
	v_and_or_b32 v2, v3, s17, v2
	v_cmp_ne_u32_e32 vcc, 0, v2
	v_lshrrev_b32_e32 v4, 8, v3
	v_bfe_u32 v7, v3, 20, 11
	v_cndmask_b32_e64 v2, 0, 1, vcc
	v_and_or_b32 v2, v4, s16, v2
	v_sub_u32_e32 v8, 0x3f1, v7
	v_or_b32_e32 v4, 0x1000, v2
	v_med3_i32 v8, v8, 0, 13
	v_lshrrev_b32_e32 v9, v8, v4
	v_lshlrev_b32_e32 v8, v8, v9
	v_cmp_ne_u32_e32 vcc, v8, v4
	v_add_u32_e32 v7, 0xfffffc10, v7
	v_lshl_or_b32 v8, v7, 12, v2
	v_cndmask_b32_e64 v4, 0, 1, vcc
	v_or_b32_e32 v4, v9, v4
	v_cmp_gt_i32_e32 vcc, 1, v7
	v_lshrrev_b32_e32 v3, 16, v3
	s_nop 0
	v_cndmask_b32_e32 v4, v8, v4, vcc
	v_and_b32_e32 v8, 7, v4
	v_cmp_lt_i32_e32 vcc, 5, v8
	v_cmp_eq_u32_e64 s[0:1], 3, v8
	v_lshrrev_b32_e32 v4, 2, v4
	s_or_b64 vcc, s[0:1], vcc
	v_addc_co_u32_e32 v4, vcc, 0, v4, vcc
	v_cmp_gt_i32_e32 vcc, 31, v7
	s_nop 1
	v_cndmask_b32_e32 v4, v22, v4, vcc
	v_cmp_ne_u32_e32 vcc, 0, v2
	s_nop 1
	v_cndmask_b32_e64 v2, 0, 1, vcc
	v_lshl_or_b32 v2, v2, 9, v22
	v_cmp_eq_u32_e32 vcc, s14, v7
	s_nop 1
	v_cndmask_b32_e32 v2, v4, v2, vcc
	v_lshrrev_b32_e32 v4, 16, v19
	v_and_or_b32 v2, v3, s15, v2
	v_bitop3_b32 v3, v6, s18, v5 bitop3:0xc8
	v_mul_f16_sdwa v5, v117, v4 dst_sel:DWORD dst_unused:UNUSED_PAD src0_sel:WORD_1 src1_sel:DWORD
	v_fma_f16 v5, v117, v19, v5
	v_cvt_f32_f16_e32 v5, v5
	v_lshl_or_b32 v2, v2, 16, v3
	global_store_dword v[0:1], v2, off
	v_lshl_add_u64 v[0:1], v[0:1], 0, s[8:9]
	v_cvt_f64_f32_e32 v[2:3], v5
	v_mul_f64 v[2:3], v[2:3], s[6:7]
	v_and_or_b32 v2, v3, s17, v2
	v_cmp_ne_u32_e32 vcc, 0, v2
	v_lshrrev_b32_e32 v5, 8, v3
	v_bfe_u32 v6, v3, 20, 11
	v_cndmask_b32_e64 v2, 0, 1, vcc
	v_and_or_b32 v2, v5, s16, v2
	v_sub_u32_e32 v7, 0x3f1, v6
	v_or_b32_e32 v5, 0x1000, v2
	v_med3_i32 v7, v7, 0, 13
	v_lshrrev_b32_e32 v8, v7, v5
	v_lshlrev_b32_e32 v7, v7, v8
	v_cmp_ne_u32_e32 vcc, v7, v5
	v_add_u32_e32 v6, 0xfffffc10, v6
	v_lshl_or_b32 v7, v6, 12, v2
	v_cndmask_b32_e64 v5, 0, 1, vcc
	v_or_b32_e32 v5, v8, v5
	v_cmp_gt_i32_e32 vcc, 1, v6
	s_nop 1
	v_cndmask_b32_e32 v5, v7, v5, vcc
	v_and_b32_e32 v7, 7, v5
	v_cmp_lt_i32_e32 vcc, 5, v7
	v_cmp_eq_u32_e64 s[0:1], 3, v7
	v_lshrrev_b32_e32 v5, 2, v5
	s_or_b64 vcc, s[0:1], vcc
	v_mul_f16_sdwa v7, v117, v19 dst_sel:DWORD dst_unused:UNUSED_PAD src0_sel:WORD_1 src1_sel:DWORD
	v_addc_co_u32_e32 v5, vcc, 0, v5, vcc
	v_fma_f16 v4, v117, v4, -v7
	v_cmp_gt_i32_e32 vcc, 31, v6
	v_cvt_f32_f16_e32 v4, v4
	s_nop 0
	v_cndmask_b32_e32 v5, v22, v5, vcc
	v_cmp_ne_u32_e32 vcc, 0, v2
	s_nop 1
	v_cndmask_b32_e64 v2, 0, 1, vcc
	v_lshl_or_b32 v2, v2, 9, v22
	v_cmp_eq_u32_e32 vcc, s14, v6
	v_and_b32_sdwa v6, v3, s15 dst_sel:DWORD dst_unused:UNUSED_PAD src0_sel:WORD_1 src1_sel:DWORD
	s_nop 0
	v_cndmask_b32_e32 v5, v5, v2, vcc
	v_cvt_f64_f32_e32 v[2:3], v4
	v_mul_f64 v[2:3], v[2:3], s[6:7]
	v_and_or_b32 v2, v3, s17, v2
	v_cmp_ne_u32_e32 vcc, 0, v2
	v_lshrrev_b32_e32 v4, 8, v3
	v_bfe_u32 v7, v3, 20, 11
	v_cndmask_b32_e64 v2, 0, 1, vcc
	v_and_or_b32 v2, v4, s16, v2
	v_sub_u32_e32 v8, 0x3f1, v7
	v_or_b32_e32 v4, 0x1000, v2
	v_med3_i32 v8, v8, 0, 13
	v_lshrrev_b32_e32 v9, v8, v4
	v_lshlrev_b32_e32 v8, v8, v9
	v_cmp_ne_u32_e32 vcc, v8, v4
	v_add_u32_e32 v7, 0xfffffc10, v7
	v_lshl_or_b32 v8, v7, 12, v2
	v_cndmask_b32_e64 v4, 0, 1, vcc
	v_or_b32_e32 v4, v9, v4
	v_cmp_gt_i32_e32 vcc, 1, v7
	v_lshrrev_b32_e32 v3, 16, v3
	s_nop 0
	v_cndmask_b32_e32 v4, v8, v4, vcc
	v_and_b32_e32 v8, 7, v4
	v_cmp_lt_i32_e32 vcc, 5, v8
	v_cmp_eq_u32_e64 s[0:1], 3, v8
	v_lshrrev_b32_e32 v4, 2, v4
	s_or_b64 vcc, s[0:1], vcc
	v_addc_co_u32_e32 v4, vcc, 0, v4, vcc
	v_cmp_gt_i32_e32 vcc, 31, v7
	s_nop 1
	v_cndmask_b32_e32 v4, v22, v4, vcc
	v_cmp_ne_u32_e32 vcc, 0, v2
	s_nop 1
	v_cndmask_b32_e64 v2, 0, 1, vcc
	v_lshl_or_b32 v2, v2, 9, v22
	v_cmp_eq_u32_e32 vcc, s14, v7
	s_nop 1
	v_cndmask_b32_e32 v2, v4, v2, vcc
	v_lshrrev_b32_e32 v4, 16, v10
	v_and_or_b32 v2, v3, s15, v2
	v_bitop3_b32 v3, v6, s18, v5 bitop3:0xc8
	v_mul_f16_sdwa v5, v69, v4 dst_sel:DWORD dst_unused:UNUSED_PAD src0_sel:WORD_1 src1_sel:DWORD
	v_fma_f16 v5, v69, v10, v5
	v_cvt_f32_f16_e32 v5, v5
	v_lshl_or_b32 v2, v2, 16, v3
	global_store_dword v[0:1], v2, off
	v_lshl_add_u64 v[0:1], v[0:1], 0, s[8:9]
	v_cvt_f64_f32_e32 v[2:3], v5
	v_mul_f64 v[2:3], v[2:3], s[6:7]
	v_and_or_b32 v2, v3, s17, v2
	v_cmp_ne_u32_e32 vcc, 0, v2
	v_lshrrev_b32_e32 v5, 8, v3
	v_bfe_u32 v6, v3, 20, 11
	v_cndmask_b32_e64 v2, 0, 1, vcc
	v_and_or_b32 v2, v5, s16, v2
	v_sub_u32_e32 v7, 0x3f1, v6
	v_or_b32_e32 v5, 0x1000, v2
	v_med3_i32 v7, v7, 0, 13
	v_lshrrev_b32_e32 v8, v7, v5
	v_lshlrev_b32_e32 v7, v7, v8
	v_cmp_ne_u32_e32 vcc, v7, v5
	v_add_u32_e32 v6, 0xfffffc10, v6
	v_lshl_or_b32 v7, v6, 12, v2
	v_cndmask_b32_e64 v5, 0, 1, vcc
	v_or_b32_e32 v5, v8, v5
	v_cmp_gt_i32_e32 vcc, 1, v6
	s_nop 1
	v_cndmask_b32_e32 v5, v7, v5, vcc
	v_and_b32_e32 v7, 7, v5
	v_cmp_lt_i32_e32 vcc, 5, v7
	v_cmp_eq_u32_e64 s[0:1], 3, v7
	v_lshrrev_b32_e32 v5, 2, v5
	s_or_b64 vcc, s[0:1], vcc
	v_mul_f16_sdwa v7, v69, v10 dst_sel:DWORD dst_unused:UNUSED_PAD src0_sel:WORD_1 src1_sel:DWORD
	v_addc_co_u32_e32 v5, vcc, 0, v5, vcc
	v_fma_f16 v4, v69, v4, -v7
	v_cmp_gt_i32_e32 vcc, 31, v6
	v_cvt_f32_f16_e32 v4, v4
	s_nop 0
	v_cndmask_b32_e32 v5, v22, v5, vcc
	v_cmp_ne_u32_e32 vcc, 0, v2
	s_nop 1
	v_cndmask_b32_e64 v2, 0, 1, vcc
	v_lshl_or_b32 v2, v2, 9, v22
	v_cmp_eq_u32_e32 vcc, s14, v6
	v_and_b32_sdwa v6, v3, s15 dst_sel:DWORD dst_unused:UNUSED_PAD src0_sel:WORD_1 src1_sel:DWORD
	s_nop 0
	v_cndmask_b32_e32 v5, v5, v2, vcc
	v_cvt_f64_f32_e32 v[2:3], v4
	v_mul_f64 v[2:3], v[2:3], s[6:7]
	v_and_or_b32 v2, v3, s17, v2
	v_cmp_ne_u32_e32 vcc, 0, v2
	v_lshrrev_b32_e32 v4, 8, v3
	v_bfe_u32 v7, v3, 20, 11
	v_cndmask_b32_e64 v2, 0, 1, vcc
	v_and_or_b32 v2, v4, s16, v2
	v_sub_u32_e32 v8, 0x3f1, v7
	v_or_b32_e32 v4, 0x1000, v2
	v_med3_i32 v8, v8, 0, 13
	v_lshrrev_b32_e32 v9, v8, v4
	v_lshlrev_b32_e32 v8, v8, v9
	v_cmp_ne_u32_e32 vcc, v8, v4
	v_add_u32_e32 v7, 0xfffffc10, v7
	v_lshl_or_b32 v8, v7, 12, v2
	v_cndmask_b32_e64 v4, 0, 1, vcc
	v_or_b32_e32 v4, v9, v4
	v_cmp_gt_i32_e32 vcc, 1, v7
	v_lshrrev_b32_e32 v3, 16, v3
	s_nop 0
	v_cndmask_b32_e32 v4, v8, v4, vcc
	v_and_b32_e32 v8, 7, v4
	v_cmp_lt_i32_e32 vcc, 5, v8
	v_cmp_eq_u32_e64 s[0:1], 3, v8
	v_lshrrev_b32_e32 v4, 2, v4
	s_or_b64 vcc, s[0:1], vcc
	v_addc_co_u32_e32 v4, vcc, 0, v4, vcc
	v_cmp_gt_i32_e32 vcc, 31, v7
	s_nop 1
	v_cndmask_b32_e32 v4, v22, v4, vcc
	v_cmp_ne_u32_e32 vcc, 0, v2
	s_nop 1
	v_cndmask_b32_e64 v2, 0, 1, vcc
	v_lshl_or_b32 v2, v2, 9, v22
	v_cmp_eq_u32_e32 vcc, s14, v7
	s_nop 1
	v_cndmask_b32_e32 v2, v4, v2, vcc
	v_lshrrev_b32_e32 v4, 16, v21
	v_and_or_b32 v2, v3, s15, v2
	v_bitop3_b32 v3, v6, s18, v5 bitop3:0xc8
	v_mul_f16_sdwa v5, v75, v4 dst_sel:DWORD dst_unused:UNUSED_PAD src0_sel:WORD_1 src1_sel:DWORD
	v_fma_f16 v5, v75, v21, v5
	v_cvt_f32_f16_e32 v5, v5
	v_lshl_or_b32 v2, v2, 16, v3
	global_store_dword v[0:1], v2, off
	v_lshl_add_u64 v[0:1], v[0:1], 0, s[8:9]
	v_cvt_f64_f32_e32 v[2:3], v5
	v_mul_f64 v[2:3], v[2:3], s[6:7]
	v_and_or_b32 v2, v3, s17, v2
	v_cmp_ne_u32_e32 vcc, 0, v2
	v_lshrrev_b32_e32 v5, 8, v3
	v_bfe_u32 v6, v3, 20, 11
	v_cndmask_b32_e64 v2, 0, 1, vcc
	v_and_or_b32 v2, v5, s16, v2
	v_sub_u32_e32 v7, 0x3f1, v6
	v_or_b32_e32 v5, 0x1000, v2
	v_med3_i32 v7, v7, 0, 13
	v_lshrrev_b32_e32 v8, v7, v5
	v_lshlrev_b32_e32 v7, v7, v8
	v_cmp_ne_u32_e32 vcc, v7, v5
	v_add_u32_e32 v6, 0xfffffc10, v6
	v_lshl_or_b32 v7, v6, 12, v2
	v_cndmask_b32_e64 v5, 0, 1, vcc
	v_or_b32_e32 v5, v8, v5
	v_cmp_gt_i32_e32 vcc, 1, v6
	s_nop 1
	v_cndmask_b32_e32 v5, v7, v5, vcc
	v_and_b32_e32 v7, 7, v5
	v_cmp_lt_i32_e32 vcc, 5, v7
	v_cmp_eq_u32_e64 s[0:1], 3, v7
	v_lshrrev_b32_e32 v5, 2, v5
	s_or_b64 vcc, s[0:1], vcc
	v_mul_f16_sdwa v7, v75, v21 dst_sel:DWORD dst_unused:UNUSED_PAD src0_sel:WORD_1 src1_sel:DWORD
	v_addc_co_u32_e32 v5, vcc, 0, v5, vcc
	v_fma_f16 v4, v75, v4, -v7
	v_cmp_gt_i32_e32 vcc, 31, v6
	v_cvt_f32_f16_e32 v4, v4
	s_nop 0
	v_cndmask_b32_e32 v5, v22, v5, vcc
	v_cmp_ne_u32_e32 vcc, 0, v2
	s_nop 1
	v_cndmask_b32_e64 v2, 0, 1, vcc
	v_lshl_or_b32 v2, v2, 9, v22
	v_cmp_eq_u32_e32 vcc, s14, v6
	v_and_b32_sdwa v6, v3, s15 dst_sel:DWORD dst_unused:UNUSED_PAD src0_sel:WORD_1 src1_sel:DWORD
	s_nop 0
	v_cndmask_b32_e32 v5, v5, v2, vcc
	v_cvt_f64_f32_e32 v[2:3], v4
	v_mul_f64 v[2:3], v[2:3], s[6:7]
	v_and_or_b32 v2, v3, s17, v2
	v_cmp_ne_u32_e32 vcc, 0, v2
	v_lshrrev_b32_e32 v4, 8, v3
	v_bfe_u32 v7, v3, 20, 11
	v_cndmask_b32_e64 v2, 0, 1, vcc
	v_and_or_b32 v2, v4, s16, v2
	v_sub_u32_e32 v8, 0x3f1, v7
	v_or_b32_e32 v4, 0x1000, v2
	v_med3_i32 v8, v8, 0, 13
	v_lshrrev_b32_e32 v9, v8, v4
	v_lshlrev_b32_e32 v8, v8, v9
	v_cmp_ne_u32_e32 vcc, v8, v4
	v_add_u32_e32 v7, 0xfffffc10, v7
	v_lshl_or_b32 v8, v7, 12, v2
	v_cndmask_b32_e64 v4, 0, 1, vcc
	v_or_b32_e32 v4, v9, v4
	v_cmp_gt_i32_e32 vcc, 1, v7
	v_lshrrev_b32_e32 v3, 16, v3
	s_nop 0
	v_cndmask_b32_e32 v4, v8, v4, vcc
	v_and_b32_e32 v8, 7, v4
	v_cmp_lt_i32_e32 vcc, 5, v8
	v_cmp_eq_u32_e64 s[0:1], 3, v8
	v_lshrrev_b32_e32 v4, 2, v4
	s_or_b64 vcc, s[0:1], vcc
	v_addc_co_u32_e32 v4, vcc, 0, v4, vcc
	v_cmp_gt_i32_e32 vcc, 31, v7
	s_nop 1
	v_cndmask_b32_e32 v4, v22, v4, vcc
	v_cmp_ne_u32_e32 vcc, 0, v2
	s_nop 1
	v_cndmask_b32_e64 v2, 0, 1, vcc
	v_lshl_or_b32 v2, v2, 9, v22
	v_cmp_eq_u32_e32 vcc, s14, v7
	s_nop 1
	v_cndmask_b32_e32 v2, v4, v2, vcc
	v_and_or_b32 v2, v3, s15, v2
	v_bitop3_b32 v3, v6, s18, v5 bitop3:0xc8
	v_lshl_or_b32 v2, v2, 16, v3
	global_store_dword v[0:1], v2, off
	s_and_b64 exec, exec, s[2:3]
	s_cbranch_execz .LBB0_15
; %bb.14:
	global_load_dword v4, v[70:71], off offset:720
	v_add_u32_e32 v2, 0x280, v68
	ds_read2_b32 v[2:3], v2 offset0:20 offset1:236
	v_lshl_add_u64 v[0:1], s[10:11], 2, v[0:1]
	s_waitcnt lgkmcnt(0)
	v_lshrrev_b32_e32 v5, 16, v2
	s_waitcnt vmcnt(0)
	v_mul_f16_sdwa v6, v5, v4 dst_sel:DWORD dst_unused:UNUSED_PAD src0_sel:DWORD src1_sel:WORD_1
	v_mul_f16_sdwa v7, v2, v4 dst_sel:DWORD dst_unused:UNUSED_PAD src0_sel:DWORD src1_sel:WORD_1
	v_fma_f16 v2, v2, v4, v6
	v_fma_f16 v4, v4, v5, -v7
	v_cvt_f32_f16_e32 v2, v2
	v_cvt_f32_f16_e32 v6, v4
	v_cvt_f64_f32_e32 v[4:5], v2
	v_cvt_f64_f32_e32 v[6:7], v6
	v_mul_f64 v[4:5], v[4:5], s[6:7]
	v_mul_f64 v[6:7], v[6:7], s[6:7]
	v_and_or_b32 v2, v5, s17, v4
	v_and_or_b32 v6, v7, s17, v6
	v_cmp_ne_u32_e32 vcc, 0, v2
	v_lshrrev_b32_e32 v4, 8, v5
	v_bfe_u32 v8, v5, 20, 11
	v_cndmask_b32_e64 v2, 0, 1, vcc
	v_cmp_ne_u32_e32 vcc, 0, v6
	v_lshrrev_b32_e32 v9, 8, v7
	v_bfe_u32 v10, v7, 20, 11
	v_sub_u32_e32 v11, 0x3f1, v8
	v_cndmask_b32_e64 v6, 0, 1, vcc
	v_and_or_b32 v2, v4, s16, v2
	v_sub_u32_e32 v12, 0x3f1, v10
	v_med3_i32 v4, v11, 0, 13
	v_and_or_b32 v6, v9, s16, v6
	v_or_b32_e32 v11, 0x1000, v2
	v_add_u32_e32 v8, 0xfffffc10, v8
	v_med3_i32 v9, v12, 0, 13
	v_cmp_ne_u32_e32 vcc, 0, v2
	v_or_b32_e32 v13, 0x1000, v6
	v_lshrrev_b32_e32 v15, v4, v11
	v_add_u32_e32 v10, 0xfffffc10, v10
	v_lshl_or_b32 v12, v8, 12, v2
	v_cndmask_b32_e64 v2, 0, 1, vcc
	v_cmp_ne_u32_e32 vcc, 0, v6
	v_lshrrev_b32_e32 v16, v9, v13
	v_lshlrev_b32_e32 v4, v4, v15
	v_lshl_or_b32 v14, v10, 12, v6
	v_cndmask_b32_e64 v6, 0, 1, vcc
	v_lshlrev_b32_e32 v9, v9, v16
	v_cmp_ne_u32_e32 vcc, v4, v11
	v_lshl_or_b32 v2, v2, 9, v22
	v_lshl_or_b32 v6, v6, 9, v22
	v_cndmask_b32_e64 v4, 0, 1, vcc
	v_cmp_ne_u32_e32 vcc, v9, v13
	v_or_b32_e32 v4, v15, v4
	v_and_b32_sdwa v5, v5, s15 dst_sel:DWORD dst_unused:UNUSED_PAD src0_sel:WORD_1 src1_sel:DWORD
	v_cndmask_b32_e64 v9, 0, 1, vcc
	v_cmp_gt_i32_e32 vcc, 1, v8
	v_or_b32_e32 v9, v16, v9
	v_lshrrev_b32_e32 v7, 16, v7
	v_cndmask_b32_e32 v4, v12, v4, vcc
	v_cmp_gt_i32_e32 vcc, 1, v10
	v_and_b32_e32 v11, 7, v4
	v_cmp_eq_u32_e64 s[0:1], 3, v11
	v_cndmask_b32_e32 v9, v14, v9, vcc
	v_cmp_lt_i32_e32 vcc, 5, v11
	v_lshrrev_b32_e32 v4, 2, v4
	v_and_b32_e32 v12, 7, v9
	s_or_b64 vcc, s[0:1], vcc
	v_cmp_lt_i32_e64 s[2:3], 5, v12
	v_cmp_eq_u32_e64 s[4:5], 3, v12
	v_addc_co_u32_e32 v4, vcc, 0, v4, vcc
	v_lshrrev_b32_e32 v9, 2, v9
	s_or_b64 vcc, s[4:5], s[2:3]
	v_addc_co_u32_e32 v9, vcc, 0, v9, vcc
	v_cmp_gt_i32_e32 vcc, 31, v8
	s_nop 1
	v_cndmask_b32_e32 v4, v22, v4, vcc
	v_cmp_gt_i32_e32 vcc, 31, v10
	s_nop 1
	v_cndmask_b32_e32 v9, v22, v9, vcc
	v_cmp_eq_u32_e32 vcc, s14, v8
	s_nop 1
	v_cndmask_b32_e32 v2, v4, v2, vcc
	v_cmp_eq_u32_e32 vcc, s14, v10
	v_bitop3_b32 v2, v5, s18, v2 bitop3:0xc8
	s_nop 0
	v_cndmask_b32_e32 v4, v9, v6, vcc
	v_and_or_b32 v4, v7, s15, v4
	v_lshl_or_b32 v2, v4, 16, v2
	global_store_dword v[0:1], v2, off
	global_load_dword v2, v[70:71], off offset:1584
	v_lshrrev_b32_e32 v4, 16, v3
	v_lshl_add_u64 v[0:1], v[0:1], 0, s[8:9]
	s_waitcnt vmcnt(0)
	v_mul_f16_sdwa v5, v4, v2 dst_sel:DWORD dst_unused:UNUSED_PAD src0_sel:DWORD src1_sel:WORD_1
	v_mul_f16_sdwa v6, v3, v2 dst_sel:DWORD dst_unused:UNUSED_PAD src0_sel:DWORD src1_sel:WORD_1
	v_fma_f16 v3, v3, v2, v5
	v_fma_f16 v2, v2, v4, -v6
	v_cvt_f32_f16_e32 v3, v3
	v_cvt_f32_f16_e32 v4, v2
	v_cvt_f64_f32_e32 v[2:3], v3
	v_cvt_f64_f32_e32 v[4:5], v4
	v_mul_f64 v[2:3], v[2:3], s[6:7]
	v_mul_f64 v[4:5], v[4:5], s[6:7]
	v_and_or_b32 v2, v3, s17, v2
	v_and_or_b32 v4, v5, s17, v4
	v_cmp_ne_u32_e32 vcc, 0, v2
	v_lshrrev_b32_e32 v6, 8, v3
	v_bfe_u32 v7, v3, 20, 11
	v_cndmask_b32_e64 v2, 0, 1, vcc
	v_cmp_ne_u32_e32 vcc, 0, v4
	v_lshrrev_b32_e32 v8, 8, v5
	v_bfe_u32 v9, v5, 20, 11
	v_sub_u32_e32 v10, 0x3f1, v7
	v_cndmask_b32_e64 v4, 0, 1, vcc
	v_and_or_b32 v2, v6, s16, v2
	v_sub_u32_e32 v11, 0x3f1, v9
	v_med3_i32 v6, v10, 0, 13
	v_and_or_b32 v4, v8, s16, v4
	v_or_b32_e32 v10, 0x1000, v2
	v_add_u32_e32 v7, 0xfffffc10, v7
	v_med3_i32 v8, v11, 0, 13
	v_cmp_ne_u32_e32 vcc, 0, v2
	v_or_b32_e32 v12, 0x1000, v4
	v_lshrrev_b32_e32 v14, v6, v10
	v_add_u32_e32 v9, 0xfffffc10, v9
	v_lshl_or_b32 v11, v7, 12, v2
	v_cndmask_b32_e64 v2, 0, 1, vcc
	v_cmp_ne_u32_e32 vcc, 0, v4
	v_lshrrev_b32_e32 v15, v8, v12
	v_lshlrev_b32_e32 v6, v6, v14
	v_lshl_or_b32 v13, v9, 12, v4
	v_cndmask_b32_e64 v4, 0, 1, vcc
	v_lshlrev_b32_e32 v8, v8, v15
	v_cmp_ne_u32_e32 vcc, v6, v10
	v_lshl_or_b32 v2, v2, 9, v22
	v_lshl_or_b32 v4, v4, 9, v22
	v_cndmask_b32_e64 v6, 0, 1, vcc
	v_cmp_ne_u32_e32 vcc, v8, v12
	v_or_b32_e32 v6, v14, v6
	v_and_b32_sdwa v3, v3, s15 dst_sel:DWORD dst_unused:UNUSED_PAD src0_sel:WORD_1 src1_sel:DWORD
	v_cndmask_b32_e64 v8, 0, 1, vcc
	v_cmp_gt_i32_e32 vcc, 1, v7
	v_or_b32_e32 v8, v15, v8
	v_lshrrev_b32_e32 v5, 16, v5
	v_cndmask_b32_e32 v6, v11, v6, vcc
	v_cmp_gt_i32_e32 vcc, 1, v9
	v_and_b32_e32 v10, 7, v6
	v_cmp_eq_u32_e64 s[0:1], 3, v10
	v_cndmask_b32_e32 v8, v13, v8, vcc
	v_cmp_lt_i32_e32 vcc, 5, v10
	v_lshrrev_b32_e32 v6, 2, v6
	v_and_b32_e32 v11, 7, v8
	s_or_b64 vcc, s[0:1], vcc
	v_cmp_lt_i32_e64 s[2:3], 5, v11
	v_cmp_eq_u32_e64 s[4:5], 3, v11
	v_addc_co_u32_e32 v6, vcc, 0, v6, vcc
	v_lshrrev_b32_e32 v8, 2, v8
	s_or_b64 vcc, s[4:5], s[2:3]
	v_addc_co_u32_e32 v8, vcc, 0, v8, vcc
	v_cmp_gt_i32_e32 vcc, 31, v7
	s_nop 1
	v_cndmask_b32_e32 v6, v22, v6, vcc
	v_cmp_gt_i32_e32 vcc, 31, v9
	s_nop 1
	v_cndmask_b32_e32 v8, v22, v8, vcc
	v_cmp_eq_u32_e32 vcc, s14, v7
	s_nop 1
	v_cndmask_b32_e32 v2, v6, v2, vcc
	v_cmp_eq_u32_e32 vcc, s14, v9
	v_bitop3_b32 v2, v3, s18, v2 bitop3:0xc8
	s_nop 0
	v_cndmask_b32_e32 v4, v8, v4, vcc
	v_and_or_b32 v4, v5, s15, v4
	v_lshl_or_b32 v2, v4, 16, v2
	global_store_dword v[0:1], v2, off
	global_load_dword v4, v[70:71], off offset:2448
	v_add_u32_e32 v2, 0x900, v68
	ds_read2_b32 v[2:3], v2 offset0:36 offset1:252
	s_waitcnt lgkmcnt(0)
	v_lshrrev_b32_e32 v5, 16, v2
	s_waitcnt vmcnt(0)
	v_mul_f16_sdwa v6, v5, v4 dst_sel:DWORD dst_unused:UNUSED_PAD src0_sel:DWORD src1_sel:WORD_1
	v_mul_f16_sdwa v7, v2, v4 dst_sel:DWORD dst_unused:UNUSED_PAD src0_sel:DWORD src1_sel:WORD_1
	v_fma_f16 v2, v2, v4, v6
	v_fma_f16 v4, v4, v5, -v7
	v_cvt_f32_f16_e32 v2, v2
	v_cvt_f32_f16_e32 v6, v4
	v_lshl_add_u64 v[4:5], v[0:1], 0, s[8:9]
	v_cvt_f64_f32_e32 v[0:1], v2
	v_cvt_f64_f32_e32 v[6:7], v6
	v_mul_f64 v[0:1], v[0:1], s[6:7]
	v_mul_f64 v[6:7], v[6:7], s[6:7]
	v_and_or_b32 v0, v1, s17, v0
	v_and_or_b32 v6, v7, s17, v6
	v_cmp_ne_u32_e32 vcc, 0, v0
	v_lshrrev_b32_e32 v2, 8, v1
	v_bfe_u32 v8, v1, 20, 11
	v_cndmask_b32_e64 v0, 0, 1, vcc
	v_cmp_ne_u32_e32 vcc, 0, v6
	v_lshrrev_b32_e32 v9, 8, v7
	v_bfe_u32 v10, v7, 20, 11
	v_sub_u32_e32 v11, 0x3f1, v8
	v_cndmask_b32_e64 v6, 0, 1, vcc
	v_and_or_b32 v0, v2, s16, v0
	v_sub_u32_e32 v12, 0x3f1, v10
	v_med3_i32 v2, v11, 0, 13
	v_and_or_b32 v6, v9, s16, v6
	v_or_b32_e32 v11, 0x1000, v0
	v_add_u32_e32 v8, 0xfffffc10, v8
	v_med3_i32 v9, v12, 0, 13
	v_cmp_ne_u32_e32 vcc, 0, v0
	v_or_b32_e32 v13, 0x1000, v6
	v_lshrrev_b32_e32 v15, v2, v11
	v_add_u32_e32 v10, 0xfffffc10, v10
	v_lshl_or_b32 v12, v8, 12, v0
	v_cndmask_b32_e64 v0, 0, 1, vcc
	v_cmp_ne_u32_e32 vcc, 0, v6
	v_lshrrev_b32_e32 v16, v9, v13
	v_lshlrev_b32_e32 v2, v2, v15
	v_lshl_or_b32 v14, v10, 12, v6
	v_cndmask_b32_e64 v6, 0, 1, vcc
	v_lshlrev_b32_e32 v9, v9, v16
	v_cmp_ne_u32_e32 vcc, v2, v11
	v_lshl_or_b32 v0, v0, 9, v22
	v_lshl_or_b32 v6, v6, 9, v22
	v_cndmask_b32_e64 v2, 0, 1, vcc
	v_cmp_ne_u32_e32 vcc, v9, v13
	v_or_b32_e32 v2, v15, v2
	v_and_b32_sdwa v1, v1, s15 dst_sel:DWORD dst_unused:UNUSED_PAD src0_sel:WORD_1 src1_sel:DWORD
	v_cndmask_b32_e64 v9, 0, 1, vcc
	v_cmp_gt_i32_e32 vcc, 1, v8
	v_or_b32_e32 v9, v16, v9
	v_lshrrev_b32_e32 v7, 16, v7
	v_cndmask_b32_e32 v2, v12, v2, vcc
	v_cmp_gt_i32_e32 vcc, 1, v10
	v_and_b32_e32 v11, 7, v2
	v_cmp_eq_u32_e64 s[0:1], 3, v11
	v_cndmask_b32_e32 v9, v14, v9, vcc
	v_cmp_lt_i32_e32 vcc, 5, v11
	v_lshrrev_b32_e32 v2, 2, v2
	v_and_b32_e32 v12, 7, v9
	s_or_b64 vcc, s[0:1], vcc
	v_cmp_lt_i32_e64 s[2:3], 5, v12
	v_cmp_eq_u32_e64 s[4:5], 3, v12
	v_addc_co_u32_e32 v2, vcc, 0, v2, vcc
	v_lshrrev_b32_e32 v9, 2, v9
	s_or_b64 vcc, s[4:5], s[2:3]
	v_addc_co_u32_e32 v9, vcc, 0, v9, vcc
	v_cmp_gt_i32_e32 vcc, 31, v8
	s_nop 1
	v_cndmask_b32_e32 v2, v22, v2, vcc
	v_cmp_gt_i32_e32 vcc, 31, v10
	s_nop 1
	v_cndmask_b32_e32 v9, v22, v9, vcc
	v_cmp_eq_u32_e32 vcc, s14, v8
	s_nop 1
	v_cndmask_b32_e32 v0, v2, v0, vcc
	v_cmp_eq_u32_e32 vcc, s14, v10
	v_bitop3_b32 v0, v1, s18, v0 bitop3:0xc8
	v_lshrrev_b32_e32 v1, 16, v3
	v_cndmask_b32_e32 v2, v9, v6, vcc
	v_and_or_b32 v2, v7, s15, v2
	v_lshl_or_b32 v0, v2, 16, v0
	global_store_dword v[4:5], v0, off
	global_load_dword v0, v[70:71], off offset:3312
	s_waitcnt vmcnt(0)
	v_mul_f16_sdwa v2, v1, v0 dst_sel:DWORD dst_unused:UNUSED_PAD src0_sel:DWORD src1_sel:WORD_1
	v_mul_f16_sdwa v6, v3, v0 dst_sel:DWORD dst_unused:UNUSED_PAD src0_sel:DWORD src1_sel:WORD_1
	v_fma_f16 v2, v3, v0, v2
	v_fma_f16 v0, v0, v1, -v6
	v_cvt_f32_f16_e32 v6, v2
	v_cvt_f32_f16_e32 v7, v0
	v_lshl_add_u64 v[2:3], v[4:5], 0, s[8:9]
	v_add_co_u32_e32 v0, vcc, s19, v70
	v_cvt_f64_f32_e32 v[4:5], v6
	v_cvt_f64_f32_e32 v[6:7], v7
	v_mul_f64 v[4:5], v[4:5], s[6:7]
	v_addc_co_u32_e32 v1, vcc, 0, v71, vcc
	v_mul_f64 v[6:7], v[6:7], s[6:7]
	v_and_or_b32 v4, v5, s17, v4
	v_and_or_b32 v6, v7, s17, v6
	v_cmp_ne_u32_e32 vcc, 0, v4
	v_lshrrev_b32_e32 v8, 8, v5
	v_bfe_u32 v9, v5, 20, 11
	v_cndmask_b32_e64 v4, 0, 1, vcc
	v_cmp_ne_u32_e32 vcc, 0, v6
	v_lshrrev_b32_e32 v10, 8, v7
	v_bfe_u32 v11, v7, 20, 11
	v_sub_u32_e32 v12, 0x3f1, v9
	v_cndmask_b32_e64 v6, 0, 1, vcc
	v_and_or_b32 v4, v8, s16, v4
	v_sub_u32_e32 v13, 0x3f1, v11
	v_med3_i32 v8, v12, 0, 13
	v_and_or_b32 v6, v10, s16, v6
	v_or_b32_e32 v12, 0x1000, v4
	v_add_u32_e32 v9, 0xfffffc10, v9
	v_med3_i32 v10, v13, 0, 13
	v_cmp_ne_u32_e32 vcc, 0, v4
	v_or_b32_e32 v14, 0x1000, v6
	v_lshrrev_b32_e32 v16, v8, v12
	v_add_u32_e32 v11, 0xfffffc10, v11
	v_lshl_or_b32 v13, v9, 12, v4
	v_cndmask_b32_e64 v4, 0, 1, vcc
	v_cmp_ne_u32_e32 vcc, 0, v6
	v_lshrrev_b32_e32 v17, v10, v14
	v_lshlrev_b32_e32 v8, v8, v16
	v_lshl_or_b32 v15, v11, 12, v6
	v_cndmask_b32_e64 v6, 0, 1, vcc
	v_lshlrev_b32_e32 v10, v10, v17
	v_cmp_ne_u32_e32 vcc, v8, v12
	v_lshl_or_b32 v4, v4, 9, v22
	v_lshl_or_b32 v6, v6, 9, v22
	v_cndmask_b32_e64 v8, 0, 1, vcc
	v_cmp_ne_u32_e32 vcc, v10, v14
	v_or_b32_e32 v8, v16, v8
	v_and_b32_sdwa v5, v5, s15 dst_sel:DWORD dst_unused:UNUSED_PAD src0_sel:WORD_1 src1_sel:DWORD
	v_cndmask_b32_e64 v10, 0, 1, vcc
	v_cmp_gt_i32_e32 vcc, 1, v9
	v_or_b32_e32 v10, v17, v10
	v_lshrrev_b32_e32 v7, 16, v7
	v_cndmask_b32_e32 v8, v13, v8, vcc
	v_cmp_gt_i32_e32 vcc, 1, v11
	v_and_b32_e32 v12, 7, v8
	v_cmp_eq_u32_e64 s[0:1], 3, v12
	v_cndmask_b32_e32 v10, v15, v10, vcc
	v_cmp_lt_i32_e32 vcc, 5, v12
	v_lshrrev_b32_e32 v8, 2, v8
	v_and_b32_e32 v13, 7, v10
	s_or_b64 vcc, s[0:1], vcc
	v_cmp_lt_i32_e64 s[2:3], 5, v13
	v_cmp_eq_u32_e64 s[4:5], 3, v13
	v_addc_co_u32_e32 v8, vcc, 0, v8, vcc
	v_lshrrev_b32_e32 v10, 2, v10
	s_or_b64 vcc, s[4:5], s[2:3]
	v_addc_co_u32_e32 v10, vcc, 0, v10, vcc
	v_cmp_gt_i32_e32 vcc, 31, v9
	s_nop 1
	v_cndmask_b32_e32 v8, v22, v8, vcc
	v_cmp_gt_i32_e32 vcc, 31, v11
	s_nop 1
	v_cndmask_b32_e32 v10, v22, v10, vcc
	v_cmp_eq_u32_e32 vcc, s14, v9
	s_nop 1
	v_cndmask_b32_e32 v4, v8, v4, vcc
	v_cmp_eq_u32_e32 vcc, s14, v11
	v_bitop3_b32 v4, v5, s18, v4 bitop3:0xc8
	s_nop 0
	v_cndmask_b32_e32 v6, v10, v6, vcc
	v_and_or_b32 v6, v7, s15, v6
	v_lshl_or_b32 v4, v6, 16, v4
	global_store_dword v[2:3], v4, off
	global_load_dword v6, v[0:1], off offset:80
	ds_read2_b32 v[4:5], v73 offset0:20 offset1:236
	v_lshl_add_u64 v[2:3], v[2:3], 0, s[8:9]
	s_waitcnt lgkmcnt(0)
	v_lshrrev_b32_e32 v7, 16, v4
	s_waitcnt vmcnt(0)
	v_mul_f16_sdwa v8, v7, v6 dst_sel:DWORD dst_unused:UNUSED_PAD src0_sel:DWORD src1_sel:WORD_1
	v_mul_f16_sdwa v9, v4, v6 dst_sel:DWORD dst_unused:UNUSED_PAD src0_sel:DWORD src1_sel:WORD_1
	v_fma_f16 v4, v4, v6, v8
	v_fma_f16 v6, v6, v7, -v9
	v_cvt_f32_f16_e32 v4, v4
	v_cvt_f32_f16_e32 v8, v6
	v_cvt_f64_f32_e32 v[6:7], v4
	v_cvt_f64_f32_e32 v[8:9], v8
	v_mul_f64 v[6:7], v[6:7], s[6:7]
	v_mul_f64 v[8:9], v[8:9], s[6:7]
	v_and_or_b32 v4, v7, s17, v6
	v_and_or_b32 v8, v9, s17, v8
	v_cmp_ne_u32_e32 vcc, 0, v4
	v_lshrrev_b32_e32 v6, 8, v7
	v_bfe_u32 v10, v7, 20, 11
	v_cndmask_b32_e64 v4, 0, 1, vcc
	v_cmp_ne_u32_e32 vcc, 0, v8
	v_lshrrev_b32_e32 v11, 8, v9
	v_bfe_u32 v12, v9, 20, 11
	v_sub_u32_e32 v13, 0x3f1, v10
	v_cndmask_b32_e64 v8, 0, 1, vcc
	v_and_or_b32 v4, v6, s16, v4
	v_sub_u32_e32 v14, 0x3f1, v12
	v_med3_i32 v6, v13, 0, 13
	v_and_or_b32 v8, v11, s16, v8
	v_or_b32_e32 v13, 0x1000, v4
	v_add_u32_e32 v10, 0xfffffc10, v10
	v_med3_i32 v11, v14, 0, 13
	v_cmp_ne_u32_e32 vcc, 0, v4
	v_or_b32_e32 v15, 0x1000, v8
	v_lshrrev_b32_e32 v17, v6, v13
	v_add_u32_e32 v12, 0xfffffc10, v12
	v_lshl_or_b32 v14, v10, 12, v4
	v_cndmask_b32_e64 v4, 0, 1, vcc
	v_cmp_ne_u32_e32 vcc, 0, v8
	v_lshrrev_b32_e32 v18, v11, v15
	v_lshlrev_b32_e32 v6, v6, v17
	v_lshl_or_b32 v16, v12, 12, v8
	v_cndmask_b32_e64 v8, 0, 1, vcc
	v_lshlrev_b32_e32 v11, v11, v18
	v_cmp_ne_u32_e32 vcc, v6, v13
	v_lshl_or_b32 v4, v4, 9, v22
	v_lshl_or_b32 v8, v8, 9, v22
	v_cndmask_b32_e64 v6, 0, 1, vcc
	v_cmp_ne_u32_e32 vcc, v11, v15
	v_or_b32_e32 v6, v17, v6
	v_and_b32_sdwa v7, v7, s15 dst_sel:DWORD dst_unused:UNUSED_PAD src0_sel:WORD_1 src1_sel:DWORD
	v_cndmask_b32_e64 v11, 0, 1, vcc
	v_cmp_gt_i32_e32 vcc, 1, v10
	v_or_b32_e32 v11, v18, v11
	v_lshrrev_b32_e32 v9, 16, v9
	v_cndmask_b32_e32 v6, v14, v6, vcc
	v_cmp_gt_i32_e32 vcc, 1, v12
	v_and_b32_e32 v13, 7, v6
	v_cmp_eq_u32_e64 s[0:1], 3, v13
	v_cndmask_b32_e32 v11, v16, v11, vcc
	v_cmp_lt_i32_e32 vcc, 5, v13
	v_lshrrev_b32_e32 v6, 2, v6
	v_and_b32_e32 v14, 7, v11
	s_or_b64 vcc, s[0:1], vcc
	v_cmp_lt_i32_e64 s[2:3], 5, v14
	v_cmp_eq_u32_e64 s[4:5], 3, v14
	v_addc_co_u32_e32 v6, vcc, 0, v6, vcc
	v_lshrrev_b32_e32 v11, 2, v11
	s_or_b64 vcc, s[4:5], s[2:3]
	v_addc_co_u32_e32 v11, vcc, 0, v11, vcc
	v_cmp_gt_i32_e32 vcc, 31, v10
	s_nop 1
	v_cndmask_b32_e32 v6, v22, v6, vcc
	v_cmp_gt_i32_e32 vcc, 31, v12
	s_nop 1
	v_cndmask_b32_e32 v11, v22, v11, vcc
	v_cmp_eq_u32_e32 vcc, s14, v10
	s_nop 1
	v_cndmask_b32_e32 v4, v6, v4, vcc
	v_cmp_eq_u32_e32 vcc, s14, v12
	v_bitop3_b32 v4, v7, s18, v4 bitop3:0xc8
	s_nop 0
	v_cndmask_b32_e32 v6, v11, v8, vcc
	v_and_or_b32 v6, v9, s15, v6
	v_lshl_or_b32 v4, v6, 16, v4
	global_store_dword v[2:3], v4, off
	global_load_dword v4, v[0:1], off offset:944
	v_lshrrev_b32_e32 v6, 16, v5
	v_lshl_add_u64 v[2:3], v[2:3], 0, s[8:9]
	s_waitcnt vmcnt(0)
	v_mul_f16_sdwa v7, v6, v4 dst_sel:DWORD dst_unused:UNUSED_PAD src0_sel:DWORD src1_sel:WORD_1
	v_mul_f16_sdwa v8, v5, v4 dst_sel:DWORD dst_unused:UNUSED_PAD src0_sel:DWORD src1_sel:WORD_1
	v_fma_f16 v5, v5, v4, v7
	v_fma_f16 v4, v4, v6, -v8
	v_cvt_f32_f16_e32 v5, v5
	v_cvt_f32_f16_e32 v6, v4
	v_cvt_f64_f32_e32 v[4:5], v5
	v_cvt_f64_f32_e32 v[6:7], v6
	v_mul_f64 v[4:5], v[4:5], s[6:7]
	v_mul_f64 v[6:7], v[6:7], s[6:7]
	v_and_or_b32 v4, v5, s17, v4
	v_and_or_b32 v6, v7, s17, v6
	v_cmp_ne_u32_e32 vcc, 0, v4
	v_lshrrev_b32_e32 v8, 8, v5
	v_bfe_u32 v9, v5, 20, 11
	v_cndmask_b32_e64 v4, 0, 1, vcc
	v_cmp_ne_u32_e32 vcc, 0, v6
	v_lshrrev_b32_e32 v10, 8, v7
	v_bfe_u32 v11, v7, 20, 11
	v_sub_u32_e32 v12, 0x3f1, v9
	v_cndmask_b32_e64 v6, 0, 1, vcc
	v_and_or_b32 v4, v8, s16, v4
	v_sub_u32_e32 v13, 0x3f1, v11
	v_med3_i32 v8, v12, 0, 13
	v_and_or_b32 v6, v10, s16, v6
	v_or_b32_e32 v12, 0x1000, v4
	v_add_u32_e32 v9, 0xfffffc10, v9
	v_med3_i32 v10, v13, 0, 13
	v_cmp_ne_u32_e32 vcc, 0, v4
	v_or_b32_e32 v14, 0x1000, v6
	v_lshrrev_b32_e32 v16, v8, v12
	v_add_u32_e32 v11, 0xfffffc10, v11
	v_lshl_or_b32 v13, v9, 12, v4
	v_cndmask_b32_e64 v4, 0, 1, vcc
	v_cmp_ne_u32_e32 vcc, 0, v6
	v_lshrrev_b32_e32 v17, v10, v14
	v_lshlrev_b32_e32 v8, v8, v16
	v_lshl_or_b32 v15, v11, 12, v6
	v_cndmask_b32_e64 v6, 0, 1, vcc
	v_lshlrev_b32_e32 v10, v10, v17
	v_cmp_ne_u32_e32 vcc, v8, v12
	v_lshl_or_b32 v4, v4, 9, v22
	v_lshl_or_b32 v6, v6, 9, v22
	v_cndmask_b32_e64 v8, 0, 1, vcc
	v_cmp_ne_u32_e32 vcc, v10, v14
	v_or_b32_e32 v8, v16, v8
	v_and_b32_sdwa v5, v5, s15 dst_sel:DWORD dst_unused:UNUSED_PAD src0_sel:WORD_1 src1_sel:DWORD
	v_cndmask_b32_e64 v10, 0, 1, vcc
	v_cmp_gt_i32_e32 vcc, 1, v9
	v_or_b32_e32 v10, v17, v10
	v_lshrrev_b32_e32 v7, 16, v7
	v_cndmask_b32_e32 v8, v13, v8, vcc
	v_cmp_gt_i32_e32 vcc, 1, v11
	v_and_b32_e32 v12, 7, v8
	v_cmp_eq_u32_e64 s[0:1], 3, v12
	v_cndmask_b32_e32 v10, v15, v10, vcc
	v_cmp_lt_i32_e32 vcc, 5, v12
	v_lshrrev_b32_e32 v8, 2, v8
	v_and_b32_e32 v13, 7, v10
	s_or_b64 vcc, s[0:1], vcc
	v_cmp_lt_i32_e64 s[2:3], 5, v13
	v_cmp_eq_u32_e64 s[4:5], 3, v13
	v_addc_co_u32_e32 v8, vcc, 0, v8, vcc
	v_lshrrev_b32_e32 v10, 2, v10
	s_or_b64 vcc, s[4:5], s[2:3]
	v_addc_co_u32_e32 v10, vcc, 0, v10, vcc
	v_cmp_gt_i32_e32 vcc, 31, v9
	s_nop 1
	v_cndmask_b32_e32 v8, v22, v8, vcc
	v_cmp_gt_i32_e32 vcc, 31, v11
	s_nop 1
	v_cndmask_b32_e32 v10, v22, v10, vcc
	v_cmp_eq_u32_e32 vcc, s14, v9
	s_nop 1
	v_cndmask_b32_e32 v4, v8, v4, vcc
	v_cmp_eq_u32_e32 vcc, s14, v11
	v_bitop3_b32 v4, v5, s18, v4 bitop3:0xc8
	s_nop 0
	v_cndmask_b32_e32 v6, v10, v6, vcc
	v_and_or_b32 v6, v7, s15, v6
	v_lshl_or_b32 v4, v6, 16, v4
	global_store_dword v[2:3], v4, off
	global_load_dword v6, v[0:1], off offset:1808
	v_add_u32_e32 v4, 0x1700, v68
	ds_read2_b32 v[4:5], v4 offset0:4 offset1:220
	v_lshl_add_u64 v[2:3], v[2:3], 0, s[8:9]
	s_waitcnt lgkmcnt(0)
	v_lshrrev_b32_e32 v7, 16, v4
	s_waitcnt vmcnt(0)
	v_mul_f16_sdwa v8, v7, v6 dst_sel:DWORD dst_unused:UNUSED_PAD src0_sel:DWORD src1_sel:WORD_1
	v_mul_f16_sdwa v9, v4, v6 dst_sel:DWORD dst_unused:UNUSED_PAD src0_sel:DWORD src1_sel:WORD_1
	v_fma_f16 v4, v4, v6, v8
	v_fma_f16 v6, v6, v7, -v9
	v_cvt_f32_f16_e32 v4, v4
	v_cvt_f32_f16_e32 v8, v6
	v_cvt_f64_f32_e32 v[6:7], v4
	v_cvt_f64_f32_e32 v[8:9], v8
	v_mul_f64 v[6:7], v[6:7], s[6:7]
	v_mul_f64 v[8:9], v[8:9], s[6:7]
	v_and_or_b32 v4, v7, s17, v6
	v_and_or_b32 v8, v9, s17, v8
	v_cmp_ne_u32_e32 vcc, 0, v4
	v_lshrrev_b32_e32 v6, 8, v7
	v_bfe_u32 v10, v7, 20, 11
	v_cndmask_b32_e64 v4, 0, 1, vcc
	v_cmp_ne_u32_e32 vcc, 0, v8
	v_lshrrev_b32_e32 v11, 8, v9
	v_bfe_u32 v12, v9, 20, 11
	v_sub_u32_e32 v13, 0x3f1, v10
	v_cndmask_b32_e64 v8, 0, 1, vcc
	v_and_or_b32 v4, v6, s16, v4
	v_sub_u32_e32 v14, 0x3f1, v12
	v_med3_i32 v6, v13, 0, 13
	v_and_or_b32 v8, v11, s16, v8
	v_or_b32_e32 v13, 0x1000, v4
	v_add_u32_e32 v10, 0xfffffc10, v10
	v_med3_i32 v11, v14, 0, 13
	v_cmp_ne_u32_e32 vcc, 0, v4
	v_or_b32_e32 v15, 0x1000, v8
	v_lshrrev_b32_e32 v17, v6, v13
	v_add_u32_e32 v12, 0xfffffc10, v12
	v_lshl_or_b32 v14, v10, 12, v4
	v_cndmask_b32_e64 v4, 0, 1, vcc
	v_cmp_ne_u32_e32 vcc, 0, v8
	v_lshrrev_b32_e32 v18, v11, v15
	v_lshlrev_b32_e32 v6, v6, v17
	v_lshl_or_b32 v16, v12, 12, v8
	v_cndmask_b32_e64 v8, 0, 1, vcc
	v_lshlrev_b32_e32 v11, v11, v18
	v_cmp_ne_u32_e32 vcc, v6, v13
	v_lshl_or_b32 v4, v4, 9, v22
	v_lshl_or_b32 v8, v8, 9, v22
	v_cndmask_b32_e64 v6, 0, 1, vcc
	v_cmp_ne_u32_e32 vcc, v11, v15
	v_or_b32_e32 v6, v17, v6
	v_and_b32_sdwa v7, v7, s15 dst_sel:DWORD dst_unused:UNUSED_PAD src0_sel:WORD_1 src1_sel:DWORD
	v_cndmask_b32_e64 v11, 0, 1, vcc
	v_cmp_gt_i32_e32 vcc, 1, v10
	v_or_b32_e32 v11, v18, v11
	v_lshrrev_b32_e32 v9, 16, v9
	v_cndmask_b32_e32 v6, v14, v6, vcc
	v_cmp_gt_i32_e32 vcc, 1, v12
	v_and_b32_e32 v13, 7, v6
	v_cmp_eq_u32_e64 s[0:1], 3, v13
	v_cndmask_b32_e32 v11, v16, v11, vcc
	v_cmp_lt_i32_e32 vcc, 5, v13
	v_lshrrev_b32_e32 v6, 2, v6
	v_and_b32_e32 v14, 7, v11
	s_or_b64 vcc, s[0:1], vcc
	v_cmp_lt_i32_e64 s[2:3], 5, v14
	v_cmp_eq_u32_e64 s[4:5], 3, v14
	v_addc_co_u32_e32 v6, vcc, 0, v6, vcc
	v_lshrrev_b32_e32 v11, 2, v11
	s_or_b64 vcc, s[4:5], s[2:3]
	v_addc_co_u32_e32 v11, vcc, 0, v11, vcc
	v_cmp_gt_i32_e32 vcc, 31, v10
	s_nop 1
	v_cndmask_b32_e32 v6, v22, v6, vcc
	v_cmp_gt_i32_e32 vcc, 31, v12
	s_nop 1
	v_cndmask_b32_e32 v11, v22, v11, vcc
	v_cmp_eq_u32_e32 vcc, s14, v10
	s_nop 1
	v_cndmask_b32_e32 v4, v6, v4, vcc
	v_cmp_eq_u32_e32 vcc, s14, v12
	v_bitop3_b32 v4, v7, s18, v4 bitop3:0xc8
	s_nop 0
	v_cndmask_b32_e32 v6, v11, v8, vcc
	v_and_or_b32 v6, v9, s15, v6
	v_lshl_or_b32 v4, v6, 16, v4
	global_store_dword v[2:3], v4, off
	global_load_dword v4, v[0:1], off offset:2672
	v_lshrrev_b32_e32 v6, 16, v5
	v_lshl_add_u64 v[2:3], v[2:3], 0, s[8:9]
	s_waitcnt vmcnt(0)
	v_mul_f16_sdwa v7, v6, v4 dst_sel:DWORD dst_unused:UNUSED_PAD src0_sel:DWORD src1_sel:WORD_1
	v_mul_f16_sdwa v8, v5, v4 dst_sel:DWORD dst_unused:UNUSED_PAD src0_sel:DWORD src1_sel:WORD_1
	v_fma_f16 v5, v5, v4, v7
	v_fma_f16 v4, v4, v6, -v8
	v_cvt_f32_f16_e32 v5, v5
	v_cvt_f32_f16_e32 v6, v4
	v_cvt_f64_f32_e32 v[4:5], v5
	v_cvt_f64_f32_e32 v[6:7], v6
	v_mul_f64 v[4:5], v[4:5], s[6:7]
	v_mul_f64 v[6:7], v[6:7], s[6:7]
	v_and_or_b32 v4, v5, s17, v4
	v_and_or_b32 v6, v7, s17, v6
	v_cmp_ne_u32_e32 vcc, 0, v4
	v_lshrrev_b32_e32 v8, 8, v5
	v_bfe_u32 v9, v5, 20, 11
	v_cndmask_b32_e64 v4, 0, 1, vcc
	v_cmp_ne_u32_e32 vcc, 0, v6
	v_lshrrev_b32_e32 v10, 8, v7
	v_bfe_u32 v11, v7, 20, 11
	v_sub_u32_e32 v12, 0x3f1, v9
	v_cndmask_b32_e64 v6, 0, 1, vcc
	v_and_or_b32 v4, v8, s16, v4
	v_sub_u32_e32 v13, 0x3f1, v11
	v_med3_i32 v8, v12, 0, 13
	v_and_or_b32 v6, v10, s16, v6
	v_or_b32_e32 v12, 0x1000, v4
	v_add_u32_e32 v9, 0xfffffc10, v9
	v_med3_i32 v10, v13, 0, 13
	v_cmp_ne_u32_e32 vcc, 0, v4
	v_or_b32_e32 v14, 0x1000, v6
	v_lshrrev_b32_e32 v16, v8, v12
	v_add_u32_e32 v11, 0xfffffc10, v11
	v_lshl_or_b32 v13, v9, 12, v4
	v_cndmask_b32_e64 v4, 0, 1, vcc
	v_cmp_ne_u32_e32 vcc, 0, v6
	v_lshrrev_b32_e32 v17, v10, v14
	v_lshlrev_b32_e32 v8, v8, v16
	v_lshl_or_b32 v15, v11, 12, v6
	v_cndmask_b32_e64 v6, 0, 1, vcc
	v_lshlrev_b32_e32 v10, v10, v17
	v_cmp_ne_u32_e32 vcc, v8, v12
	v_lshl_or_b32 v4, v4, 9, v22
	v_lshl_or_b32 v6, v6, 9, v22
	v_cndmask_b32_e64 v8, 0, 1, vcc
	v_cmp_ne_u32_e32 vcc, v10, v14
	v_or_b32_e32 v8, v16, v8
	v_and_b32_sdwa v5, v5, s15 dst_sel:DWORD dst_unused:UNUSED_PAD src0_sel:WORD_1 src1_sel:DWORD
	v_cndmask_b32_e64 v10, 0, 1, vcc
	v_cmp_gt_i32_e32 vcc, 1, v9
	v_or_b32_e32 v10, v17, v10
	v_lshrrev_b32_e32 v7, 16, v7
	v_cndmask_b32_e32 v8, v13, v8, vcc
	v_cmp_gt_i32_e32 vcc, 1, v11
	v_and_b32_e32 v12, 7, v8
	v_cmp_eq_u32_e64 s[0:1], 3, v12
	v_cndmask_b32_e32 v10, v15, v10, vcc
	v_cmp_lt_i32_e32 vcc, 5, v12
	v_lshrrev_b32_e32 v8, 2, v8
	v_and_b32_e32 v13, 7, v10
	s_or_b64 vcc, s[0:1], vcc
	v_cmp_lt_i32_e64 s[2:3], 5, v13
	v_cmp_eq_u32_e64 s[4:5], 3, v13
	v_addc_co_u32_e32 v8, vcc, 0, v8, vcc
	v_lshrrev_b32_e32 v10, 2, v10
	s_or_b64 vcc, s[4:5], s[2:3]
	v_addc_co_u32_e32 v10, vcc, 0, v10, vcc
	v_cmp_gt_i32_e32 vcc, 31, v9
	s_movk_i32 s0, 0x2000
	s_nop 0
	v_cndmask_b32_e32 v8, v22, v8, vcc
	v_cmp_gt_i32_e32 vcc, 31, v11
	s_nop 1
	v_cndmask_b32_e32 v10, v22, v10, vcc
	v_cmp_eq_u32_e32 vcc, s14, v9
	s_nop 1
	v_cndmask_b32_e32 v4, v8, v4, vcc
	v_cmp_eq_u32_e32 vcc, s14, v11
	v_bitop3_b32 v4, v5, s18, v4 bitop3:0xc8
	s_nop 0
	v_cndmask_b32_e32 v6, v10, v6, vcc
	v_and_or_b32 v6, v7, s15, v6
	v_lshl_or_b32 v4, v6, 16, v4
	global_store_dword v[2:3], v4, off
	global_load_dword v4, v[0:1], off offset:3536
	v_add_u32_e32 v0, 0x1d80, v68
	ds_read2_b32 v[0:1], v0 offset0:20 offset1:236
	v_lshl_add_u64 v[2:3], v[2:3], 0, s[8:9]
	s_waitcnt lgkmcnt(0)
	v_lshrrev_b32_e32 v5, 16, v0
	s_waitcnt vmcnt(0)
	v_mul_f16_sdwa v6, v5, v4 dst_sel:DWORD dst_unused:UNUSED_PAD src0_sel:DWORD src1_sel:WORD_1
	v_mul_f16_sdwa v7, v0, v4 dst_sel:DWORD dst_unused:UNUSED_PAD src0_sel:DWORD src1_sel:WORD_1
	v_fma_f16 v0, v0, v4, v6
	v_fma_f16 v4, v4, v5, -v7
	v_cvt_f32_f16_e32 v0, v0
	v_cvt_f32_f16_e32 v8, v4
	v_add_co_u32_e32 v4, vcc, s0, v70
	v_cvt_f64_f32_e32 v[6:7], v0
	v_cvt_f64_f32_e32 v[8:9], v8
	v_mul_f64 v[6:7], v[6:7], s[6:7]
	v_addc_co_u32_e32 v5, vcc, 0, v71, vcc
	v_mul_f64 v[8:9], v[8:9], s[6:7]
	v_and_or_b32 v0, v7, s17, v6
	v_and_or_b32 v8, v9, s17, v8
	v_cmp_ne_u32_e32 vcc, 0, v0
	v_lshrrev_b32_e32 v6, 8, v7
	v_bfe_u32 v10, v7, 20, 11
	v_cndmask_b32_e64 v0, 0, 1, vcc
	v_cmp_ne_u32_e32 vcc, 0, v8
	v_lshrrev_b32_e32 v11, 8, v9
	v_bfe_u32 v12, v9, 20, 11
	v_sub_u32_e32 v13, 0x3f1, v10
	v_cndmask_b32_e64 v8, 0, 1, vcc
	v_and_or_b32 v0, v6, s16, v0
	v_sub_u32_e32 v14, 0x3f1, v12
	v_med3_i32 v6, v13, 0, 13
	v_and_or_b32 v8, v11, s16, v8
	v_or_b32_e32 v13, 0x1000, v0
	v_add_u32_e32 v10, 0xfffffc10, v10
	v_med3_i32 v11, v14, 0, 13
	v_cmp_ne_u32_e32 vcc, 0, v0
	v_or_b32_e32 v15, 0x1000, v8
	v_lshrrev_b32_e32 v17, v6, v13
	v_add_u32_e32 v12, 0xfffffc10, v12
	v_lshl_or_b32 v14, v10, 12, v0
	v_cndmask_b32_e64 v0, 0, 1, vcc
	v_cmp_ne_u32_e32 vcc, 0, v8
	v_lshrrev_b32_e32 v18, v11, v15
	v_lshlrev_b32_e32 v6, v6, v17
	v_lshl_or_b32 v16, v12, 12, v8
	v_cndmask_b32_e64 v8, 0, 1, vcc
	v_lshlrev_b32_e32 v11, v11, v18
	v_cmp_ne_u32_e32 vcc, v6, v13
	v_lshl_or_b32 v0, v0, 9, v22
	v_lshl_or_b32 v8, v8, 9, v22
	v_cndmask_b32_e64 v6, 0, 1, vcc
	v_cmp_ne_u32_e32 vcc, v11, v15
	v_or_b32_e32 v6, v17, v6
	v_and_b32_sdwa v7, v7, s15 dst_sel:DWORD dst_unused:UNUSED_PAD src0_sel:WORD_1 src1_sel:DWORD
	v_cndmask_b32_e64 v11, 0, 1, vcc
	v_cmp_gt_i32_e32 vcc, 1, v10
	v_or_b32_e32 v11, v18, v11
	v_lshrrev_b32_e32 v9, 16, v9
	v_cndmask_b32_e32 v6, v14, v6, vcc
	v_cmp_gt_i32_e32 vcc, 1, v12
	v_and_b32_e32 v13, 7, v6
	v_cmp_eq_u32_e64 s[0:1], 3, v13
	v_cndmask_b32_e32 v11, v16, v11, vcc
	v_cmp_lt_i32_e32 vcc, 5, v13
	v_lshrrev_b32_e32 v6, 2, v6
	v_and_b32_e32 v14, 7, v11
	s_or_b64 vcc, s[0:1], vcc
	v_cmp_lt_i32_e64 s[2:3], 5, v14
	v_cmp_eq_u32_e64 s[4:5], 3, v14
	v_addc_co_u32_e32 v6, vcc, 0, v6, vcc
	v_lshrrev_b32_e32 v11, 2, v11
	s_or_b64 vcc, s[4:5], s[2:3]
	v_addc_co_u32_e32 v11, vcc, 0, v11, vcc
	v_cmp_gt_i32_e32 vcc, 31, v10
	s_nop 1
	v_cndmask_b32_e32 v6, v22, v6, vcc
	v_cmp_gt_i32_e32 vcc, 31, v12
	s_nop 1
	v_cndmask_b32_e32 v11, v22, v11, vcc
	v_cmp_eq_u32_e32 vcc, s14, v10
	s_nop 1
	v_cndmask_b32_e32 v0, v6, v0, vcc
	v_cmp_eq_u32_e32 vcc, s14, v12
	v_bitop3_b32 v0, v7, s18, v0 bitop3:0xc8
	s_nop 0
	v_cndmask_b32_e32 v6, v11, v8, vcc
	v_and_or_b32 v6, v9, s15, v6
	v_lshl_or_b32 v0, v6, 16, v0
	global_store_dword v[2:3], v0, off
	global_load_dword v0, v[4:5], off offset:304
	v_lshrrev_b32_e32 v4, 16, v1
	s_waitcnt vmcnt(0)
	v_mul_f16_sdwa v5, v4, v0 dst_sel:DWORD dst_unused:UNUSED_PAD src0_sel:DWORD src1_sel:WORD_1
	v_mul_f16_sdwa v6, v1, v0 dst_sel:DWORD dst_unused:UNUSED_PAD src0_sel:DWORD src1_sel:WORD_1
	v_fma_f16 v1, v1, v0, v5
	v_fma_f16 v0, v0, v4, -v6
	v_cvt_f32_f16_e32 v1, v1
	v_cvt_f32_f16_e32 v4, v0
	v_cvt_f64_f32_e32 v[0:1], v1
	v_cvt_f64_f32_e32 v[4:5], v4
	v_mul_f64 v[0:1], v[0:1], s[6:7]
	v_mul_f64 v[4:5], v[4:5], s[6:7]
	v_and_or_b32 v0, v1, s17, v0
	v_and_or_b32 v4, v5, s17, v4
	v_cmp_ne_u32_e32 vcc, 0, v0
	v_lshrrev_b32_e32 v6, 8, v1
	v_bfe_u32 v7, v1, 20, 11
	v_cndmask_b32_e64 v0, 0, 1, vcc
	v_cmp_ne_u32_e32 vcc, 0, v4
	v_lshrrev_b32_e32 v8, 8, v5
	v_bfe_u32 v9, v5, 20, 11
	v_sub_u32_e32 v10, 0x3f1, v7
	v_cndmask_b32_e64 v4, 0, 1, vcc
	v_and_or_b32 v0, v6, s16, v0
	v_sub_u32_e32 v11, 0x3f1, v9
	v_med3_i32 v6, v10, 0, 13
	v_and_or_b32 v4, v8, s16, v4
	v_or_b32_e32 v10, 0x1000, v0
	v_add_u32_e32 v7, 0xfffffc10, v7
	v_med3_i32 v8, v11, 0, 13
	v_cmp_ne_u32_e32 vcc, 0, v0
	v_or_b32_e32 v12, 0x1000, v4
	v_lshrrev_b32_e32 v14, v6, v10
	v_add_u32_e32 v9, 0xfffffc10, v9
	v_lshl_or_b32 v11, v7, 12, v0
	v_cndmask_b32_e64 v0, 0, 1, vcc
	v_cmp_ne_u32_e32 vcc, 0, v4
	v_lshrrev_b32_e32 v15, v8, v12
	v_lshlrev_b32_e32 v6, v6, v14
	v_lshl_or_b32 v13, v9, 12, v4
	v_cndmask_b32_e64 v4, 0, 1, vcc
	v_lshlrev_b32_e32 v8, v8, v15
	v_cmp_ne_u32_e32 vcc, v6, v10
	v_lshl_or_b32 v0, v0, 9, v22
	v_lshl_or_b32 v4, v4, 9, v22
	v_cndmask_b32_e64 v6, 0, 1, vcc
	v_cmp_ne_u32_e32 vcc, v8, v12
	v_or_b32_e32 v6, v14, v6
	v_and_b32_sdwa v1, v1, s15 dst_sel:DWORD dst_unused:UNUSED_PAD src0_sel:WORD_1 src1_sel:DWORD
	v_cndmask_b32_e64 v8, 0, 1, vcc
	v_cmp_gt_i32_e32 vcc, 1, v7
	v_or_b32_e32 v8, v15, v8
	v_lshrrev_b32_e32 v5, 16, v5
	v_cndmask_b32_e32 v6, v11, v6, vcc
	v_cmp_gt_i32_e32 vcc, 1, v9
	v_and_b32_e32 v10, 7, v6
	v_cmp_eq_u32_e64 s[0:1], 3, v10
	v_cndmask_b32_e32 v8, v13, v8, vcc
	v_cmp_lt_i32_e32 vcc, 5, v10
	v_lshrrev_b32_e32 v6, 2, v6
	v_and_b32_e32 v11, 7, v8
	s_or_b64 vcc, s[0:1], vcc
	v_cmp_lt_i32_e64 s[2:3], 5, v11
	v_cmp_eq_u32_e64 s[4:5], 3, v11
	v_addc_co_u32_e32 v6, vcc, 0, v6, vcc
	v_lshrrev_b32_e32 v8, 2, v8
	s_or_b64 vcc, s[4:5], s[2:3]
	v_addc_co_u32_e32 v8, vcc, 0, v8, vcc
	v_cmp_gt_i32_e32 vcc, 31, v7
	s_nop 1
	v_cndmask_b32_e32 v6, v22, v6, vcc
	v_cmp_gt_i32_e32 vcc, 31, v9
	s_nop 1
	v_cndmask_b32_e32 v8, v22, v8, vcc
	v_cmp_eq_u32_e32 vcc, s14, v7
	s_nop 1
	v_cndmask_b32_e32 v0, v6, v0, vcc
	v_cmp_eq_u32_e32 vcc, s14, v9
	v_bitop3_b32 v0, v1, s18, v0 bitop3:0xc8
	s_nop 0
	v_cndmask_b32_e32 v4, v8, v4, vcc
	v_and_or_b32 v4, v5, s15, v4
	v_lshl_or_b32 v4, v4, 16, v0
	v_lshl_add_u64 v[0:1], v[2:3], 0, s[8:9]
	global_store_dword v[0:1], v4, off
.LBB0_15:
	s_endpgm
	.section	.rodata,"a",@progbits
	.p2align	6, 0x0
	.amdhsa_kernel bluestein_single_back_len2160_dim1_half_op_CI_CI
		.amdhsa_group_segment_fixed_size 8640
		.amdhsa_private_segment_fixed_size 0
		.amdhsa_kernarg_size 104
		.amdhsa_user_sgpr_count 2
		.amdhsa_user_sgpr_dispatch_ptr 0
		.amdhsa_user_sgpr_queue_ptr 0
		.amdhsa_user_sgpr_kernarg_segment_ptr 1
		.amdhsa_user_sgpr_dispatch_id 0
		.amdhsa_user_sgpr_kernarg_preload_length 0
		.amdhsa_user_sgpr_kernarg_preload_offset 0
		.amdhsa_user_sgpr_private_segment_size 0
		.amdhsa_uses_dynamic_stack 0
		.amdhsa_enable_private_segment 0
		.amdhsa_system_sgpr_workgroup_id_x 1
		.amdhsa_system_sgpr_workgroup_id_y 0
		.amdhsa_system_sgpr_workgroup_id_z 0
		.amdhsa_system_sgpr_workgroup_info 0
		.amdhsa_system_vgpr_workitem_id 0
		.amdhsa_next_free_vgpr 236
		.amdhsa_next_free_sgpr 21
		.amdhsa_accum_offset 236
		.amdhsa_reserve_vcc 1
		.amdhsa_float_round_mode_32 0
		.amdhsa_float_round_mode_16_64 0
		.amdhsa_float_denorm_mode_32 3
		.amdhsa_float_denorm_mode_16_64 3
		.amdhsa_dx10_clamp 1
		.amdhsa_ieee_mode 1
		.amdhsa_fp16_overflow 0
		.amdhsa_tg_split 0
		.amdhsa_exception_fp_ieee_invalid_op 0
		.amdhsa_exception_fp_denorm_src 0
		.amdhsa_exception_fp_ieee_div_zero 0
		.amdhsa_exception_fp_ieee_overflow 0
		.amdhsa_exception_fp_ieee_underflow 0
		.amdhsa_exception_fp_ieee_inexact 0
		.amdhsa_exception_int_div_zero 0
	.end_amdhsa_kernel
	.text
.Lfunc_end0:
	.size	bluestein_single_back_len2160_dim1_half_op_CI_CI, .Lfunc_end0-bluestein_single_back_len2160_dim1_half_op_CI_CI
                                        ; -- End function
	.section	.AMDGPU.csdata,"",@progbits
; Kernel info:
; codeLenInByte = 57240
; NumSgprs: 27
; NumVgprs: 236
; NumAgprs: 0
; TotalNumVgprs: 236
; ScratchSize: 0
; MemoryBound: 0
; FloatMode: 240
; IeeeMode: 1
; LDSByteSize: 8640 bytes/workgroup (compile time only)
; SGPRBlocks: 3
; VGPRBlocks: 29
; NumSGPRsForWavesPerEU: 27
; NumVGPRsForWavesPerEU: 236
; AccumOffset: 236
; Occupancy: 2
; WaveLimiterHint : 1
; COMPUTE_PGM_RSRC2:SCRATCH_EN: 0
; COMPUTE_PGM_RSRC2:USER_SGPR: 2
; COMPUTE_PGM_RSRC2:TRAP_HANDLER: 0
; COMPUTE_PGM_RSRC2:TGID_X_EN: 1
; COMPUTE_PGM_RSRC2:TGID_Y_EN: 0
; COMPUTE_PGM_RSRC2:TGID_Z_EN: 0
; COMPUTE_PGM_RSRC2:TIDIG_COMP_CNT: 0
; COMPUTE_PGM_RSRC3_GFX90A:ACCUM_OFFSET: 58
; COMPUTE_PGM_RSRC3_GFX90A:TG_SPLIT: 0
	.text
	.p2alignl 6, 3212836864
	.fill 256, 4, 3212836864
	.type	__hip_cuid_60c32985f3597e0d,@object ; @__hip_cuid_60c32985f3597e0d
	.section	.bss,"aw",@nobits
	.globl	__hip_cuid_60c32985f3597e0d
__hip_cuid_60c32985f3597e0d:
	.byte	0                               ; 0x0
	.size	__hip_cuid_60c32985f3597e0d, 1

	.ident	"AMD clang version 19.0.0git (https://github.com/RadeonOpenCompute/llvm-project roc-6.4.0 25133 c7fe45cf4b819c5991fe208aaa96edf142730f1d)"
	.section	".note.GNU-stack","",@progbits
	.addrsig
	.addrsig_sym __hip_cuid_60c32985f3597e0d
	.amdgpu_metadata
---
amdhsa.kernels:
  - .agpr_count:     0
    .args:
      - .actual_access:  read_only
        .address_space:  global
        .offset:         0
        .size:           8
        .value_kind:     global_buffer
      - .actual_access:  read_only
        .address_space:  global
        .offset:         8
        .size:           8
        .value_kind:     global_buffer
      - .actual_access:  read_only
        .address_space:  global
        .offset:         16
        .size:           8
        .value_kind:     global_buffer
      - .actual_access:  read_only
        .address_space:  global
        .offset:         24
        .size:           8
        .value_kind:     global_buffer
      - .actual_access:  read_only
        .address_space:  global
        .offset:         32
        .size:           8
        .value_kind:     global_buffer
      - .offset:         40
        .size:           8
        .value_kind:     by_value
      - .address_space:  global
        .offset:         48
        .size:           8
        .value_kind:     global_buffer
      - .address_space:  global
        .offset:         56
        .size:           8
        .value_kind:     global_buffer
      - .address_space:  global
        .offset:         64
        .size:           8
        .value_kind:     global_buffer
      - .address_space:  global
        .offset:         72
        .size:           8
        .value_kind:     global_buffer
      - .offset:         80
        .size:           4
        .value_kind:     by_value
      - .address_space:  global
        .offset:         88
        .size:           8
        .value_kind:     global_buffer
      - .address_space:  global
        .offset:         96
        .size:           8
        .value_kind:     global_buffer
    .group_segment_fixed_size: 8640
    .kernarg_segment_align: 8
    .kernarg_segment_size: 104
    .language:       OpenCL C
    .language_version:
      - 2
      - 0
    .max_flat_workgroup_size: 60
    .name:           bluestein_single_back_len2160_dim1_half_op_CI_CI
    .private_segment_fixed_size: 0
    .sgpr_count:     27
    .sgpr_spill_count: 0
    .symbol:         bluestein_single_back_len2160_dim1_half_op_CI_CI.kd
    .uniform_work_group_size: 1
    .uses_dynamic_stack: false
    .vgpr_count:     236
    .vgpr_spill_count: 0
    .wavefront_size: 64
amdhsa.target:   amdgcn-amd-amdhsa--gfx950
amdhsa.version:
  - 1
  - 2
...

	.end_amdgpu_metadata
